;; amdgpu-corpus repo=ROCm/aiter kind=harvested arch=n/a opt=n/a

/root/src/amdgpu-assembly/repos/ROCm__aiter/hsa/gfx942/fmoe_2stages/fmoe_stage1_bf16_pertokenFp8_blockscale_g1u1_64x256_pf2.co:	file format elf64-amdgpu

Disassembly of section .text:

0000000000002a00 <_ZN5aiter55fmoe_stage1_bf16_pertokenFp8_blockscale_g1u1_64x256_pf2E>:
	s_and_b32 s1, s1, 0xffff                                   // 000000002A00: 8601FF01 0000FFFF
	s_load_dwordx2 s[8:9], s[0:1], 0x0                         // 000000002A08: C0060200 00000000
	s_load_dwordx2 s[20:21], s[0:1], 0x10                      // 000000002A10: C0060500 00000010
	s_load_dwordx2 s[24:25], s[0:1], 0x20                      // 000000002A18: C0060600 00000020
	s_load_dwordx2 s[48:49], s[0:1], 0x30                      // 000000002A20: C0060C00 00000030
	s_load_dwordx2 s[28:29], s[0:1], 0x40                      // 000000002A28: C0060700 00000040
	s_load_dwordx2 s[32:33], s[0:1], 0x50                      // 000000002A30: C0060800 00000050
	s_load_dwordx2 s[36:37], s[0:1], 0x60                      // 000000002A38: C0060900 00000060
	s_load_dwordx2 s[12:13], s[0:1], 0x70                      // 000000002A40: C0060300 00000070
	s_load_dwordx2 s[44:45], s[0:1], 0x80                      // 000000002A48: C0060B00 00000080
	s_mov_b32 s89, 0                                           // 000000002A50: BED90080
	s_load_dword s64, s[0:1], 0x90                             // 000000002A54: C0021000 00000090
	s_load_dword s65, s[0:1], 0xa0                             // 000000002A5C: C0021040 000000A0
	s_load_dword s66, s[0:1], 0xb0                             // 000000002A64: C0021080 000000B0
	s_load_dword s67, s[0:1], 0xc0                             // 000000002A6C: C00210C0 000000C0
	s_load_dword s68, s[0:1], 0xd0                             // 000000002A74: C0021100 000000D0
	s_load_dword s69, s[0:1], 0xe0                             // 000000002A7C: C0021140 000000E0
	s_load_dword s71, s[0:1], 0xf0                             // 000000002A84: C00211C0 000000F0
	s_load_dword s72, s[0:1], 0x100                            // 000000002A8C: C0021200 00000100
	s_load_dword s74, s[0:1], 0x110                            // 000000002A94: C0021280 00000110
	s_load_dword s76, s[0:1], 0x120                            // 000000002A9C: C0021300 00000120
	s_load_dword s56, s[0:1], 0x130                            // 000000002AA4: C0020E00 00000130
	s_load_dword s88, s[0:1], 0x140                            // 000000002AAC: C0021600 00000140
	s_load_dword s89, s[0:1], 0x150                            // 000000002AB4: C0021640 00000150
	v_lshrrev_b32_e32 v1, 10, v0                               // 000000002ABC: 2002008A
	v_lshrrev_b32_e32 v2, 10, v1                               // 000000002AC0: 2004028A
	v_and_b32_e32 v2, 0x3ff, v2                                // 000000002AC4: 260404FF 000003FF
	v_and_b32_e32 v1, 0x3ff, v1                                // 000000002ACC: 260202FF 000003FF
	v_and_b32_e32 v0, 0x3ff, v0                                // 000000002AD4: 260000FF 000003FF
	v_lshrrev_b32_e32 v3, 6, v0                                // 000000002ADC: 20060086
	v_and_b32_e32 v0, 63, v0                                   // 000000002AE0: 260000BF
	s_mov_b32 s2, s2                                           // 000000002AE4: BE820002
	s_mov_b32 s3, s3                                           // 000000002AE8: BE830003
	s_mov_b32 s4, s4                                           // 000000002AEC: BE840004
	v_readfirstlane_b32 s7, v3                                 // 000000002AF0: 7E0E0503
	s_waitcnt lgkmcnt(0)                                       // 000000002AF4: BF8CC07F
	s_and_b32 s49, s49, 0xffff                                 // 000000002AF8: 8631FF31 0000FFFF
	s_load_dword s48, s[48:49], 0x0                            // 000000002B00: C0020C18 00000000
	s_and_b32 s45, s45, 0xffff                                 // 000000002B08: 862DFF2D 0000FFFF
	s_and_b32 s9, s9, 0xffff                                   // 000000002B10: 8609FF09 0000FFFF
	s_mul_i32 s60, s66, s68                                    // 000000002B18: 923C4442
	s_mul_i32 s61, s66, 4                                      // 000000002B1C: 923D8442
	s_mov_b32 s22, s60                                         // 000000002B20: BE96003C
	s_mov_b32 s26, -16                                         // 000000002B24: BE9A00D0
	s_mov_b32 s30, s61                                         // 000000002B28: BE9E003D
	s_mov_b32 s14, 0x100                                       // 000000002B2C: BE8E00FF 00000100
	s_mov_b32 s38, -16                                         // 000000002B34: BEA600D0
	s_mov_b32 s10, -16                                         // 000000002B38: BE8A00D0
	s_lshr_b32 s60, s64, 7                                     // 000000002B3C: 8F3C8740
	s_mul_i32 s61, s60, 4                                      // 000000002B40: 923D843C
	s_lshr_b32 s60, s65, 7                                     // 000000002B44: 8F3C8741
	s_add_u32 s60, s60, 2                                      // 000000002B48: 803C823C
	s_mul_i32 s60, s60, s61                                    // 000000002B4C: 923C3D3C
	s_mov_b32 s34, s60                                         // 000000002B50: BEA2003C
	s_mov_b32 s23, 0x20000                                     // 000000002B54: BE9700FF 00020000
	s_mov_b32 s27, 0x20000                                     // 000000002B5C: BE9B00FF 00020000
	s_mov_b32 s31, 0x20000                                     // 000000002B64: BE9F00FF 00020000
	s_mov_b32 s35, 0x20000                                     // 000000002B6C: BEA300FF 00020000
	s_mov_b32 s15, 0x20000                                     // 000000002B74: BE8F00FF 00020000
	s_mov_b32 s39, 0x20000                                     // 000000002B7C: BEA700FF 00020000
	s_mov_b32 s11, 0x20000                                     // 000000002B84: BE8B00FF 00020000
	s_and_b32 s21, s21, 0xffff                                 // 000000002B8C: 8615FF15 0000FFFF
	s_and_b32 s25, s25, 0xffff                                 // 000000002B94: 8619FF19 0000FFFF
	s_and_b32 s29, s29, 0xffff                                 // 000000002B9C: 861DFF1D 0000FFFF
	s_and_b32 s33, s33, 0xffff                                 // 000000002BA4: 8621FF21 0000FFFF
	s_and_b32 s13, s13, 0xffff                                 // 000000002BAC: 860DFF0D 0000FFFF
	s_and_b32 s37, s37, 0xffff                                 // 000000002BB4: 8625FF25 0000FFFF
	s_or_b32 s21, s21, 0x40000                                 // 000000002BBC: 8715FF15 00040000
	s_or_b32 s25, s25, 0x40000                                 // 000000002BC4: 8719FF19 00040000
	s_or_b32 s29, s29, 0x40000                                 // 000000002BCC: 871DFF1D 00040000
	s_or_b32 s33, s33, 0x40000                                 // 000000002BD4: 8721FF21 00040000
	s_or_b32 s13, s13, 0x40000                                 // 000000002BDC: 870DFF0D 00040000
	s_or_b32 s37, s37, 0x40000                                 // 000000002BE4: 8725FF25 00040000
	v_accvgpr_write_b32 a127, 0                                // 000000002BEC: D3D9407F 18000080
	v_mov_b32_e32 v183, 0                                      // 000000002BF4: 7F6E0280
	s_waitcnt lgkmcnt(0)                                       // 000000002BF8: BF8CC07F
	s_mul_i32 s60, s3, 64                                      // 000000002BFC: 923CC003
	s_cmp_lt_i32 s60, s48                                      // 000000002C00: BF04303C
	s_cbranch_scc0 label_2ADC                                  // 000000002C04: BF842A57
	s_mov_b32 s80, 0                                           // 000000002C08: BED00080
	s_lshr_b32 s81, s64, s88                                   // 000000002C0C: 8F515840
	s_mul_i32 s60, s3, 4                                       // 000000002C10: 923C8403
	s_add_u32 s44, s60, s44                                    // 000000002C14: 802C2C3C
	s_addc_u32 s45, 0, s45                                     // 000000002C18: 822D2D80
	s_load_dword s5, s[44:45], 0x0                             // 000000002C1C: C0020156 00000000
	s_mul_i32 s60, s3, 64                                      // 000000002C24: 923CC003
	s_mul_i32 s60, 4, s60                                      // 000000002C28: 923C3C84
	s_add_u32 s12, s60, s12                                    // 000000002C2C: 800C0C3C
	s_addc_u32 s13, 0, s13                                     // 000000002C30: 820D0D80
	v_and_b32_e32 v4, 15, v0                                   // 000000002C34: 2608008F
	v_lshlrev_b32_e32 v4, 2, v4                                // 000000002C38: 24080882
	buffer_load_dword v28, v4, s[12:15], 0 offen               // 000000002C3C: E0501000 80031C04
	v_add_u32_e32 v4, 64, v4                                   // 000000002C44: 680808C0
	buffer_load_dword v29, v4, s[12:15], 0 offen               // 000000002C48: E0501000 80031D04
	v_add_u32_e32 v4, 64, v4                                   // 000000002C50: 680808C0
	buffer_load_dword v30, v4, s[12:15], 0 offen               // 000000002C54: E0501000 80031E04
	v_add_u32_e32 v4, 64, v4                                   // 000000002C5C: 680808C0
	buffer_load_dword v31, v4, s[12:15], 0 offen               // 000000002C60: E0501000 80031F04
	v_add_u32_e32 v4, 64, v4                                   // 000000002C68: 680808C0
	s_mul_i32 s60, 4, s7                                       // 000000002C6C: 923C0784
	v_lshlrev_b32_e32 v4, 4, v0                                // 000000002C70: 24080084
	v_add_u32_e32 v4, s60, v4                                  // 000000002C74: 6808083C
	buffer_load_dword v3, v4, s[12:15], 0 offen                // 000000002C78: E0501000 80030304
	v_mov_b32_e32 v56, 0                                       // 000000002C80: 7E700280
	v_mov_b32_e32 v120, 0                                      // 000000002C84: 7EF00280
	v_mov_b32_e32 v57, 0                                       // 000000002C88: 7E720280
	v_mov_b32_e32 v121, 0                                      // 000000002C8C: 7EF20280
	v_mov_b32_e32 v58, 0                                       // 000000002C90: 7E740280
	v_mov_b32_e32 v122, 0                                      // 000000002C94: 7EF40280
	v_mov_b32_e32 v59, 0                                       // 000000002C98: 7E760280
	v_mov_b32_e32 v123, 0                                      // 000000002C9C: 7EF60280
	v_mov_b32_e32 v60, 0                                       // 000000002CA0: 7E780280
	v_mov_b32_e32 v124, 0                                      // 000000002CA4: 7EF80280
	v_mov_b32_e32 v61, 0                                       // 000000002CA8: 7E7A0280
	v_mov_b32_e32 v125, 0                                      // 000000002CAC: 7EFA0280
	v_mov_b32_e32 v62, 0                                       // 000000002CB0: 7E7C0280
	v_mov_b32_e32 v126, 0                                      // 000000002CB4: 7EFC0280
	v_mov_b32_e32 v63, 0                                       // 000000002CB8: 7E7E0280
	v_mov_b32_e32 v127, 0                                      // 000000002CBC: 7EFE0280
	v_mov_b32_e32 v64, 0                                       // 000000002CC0: 7E800280
	v_mov_b32_e32 v128, 0                                      // 000000002CC4: 7F000280
	v_mov_b32_e32 v65, 0                                       // 000000002CC8: 7E820280
	v_mov_b32_e32 v129, 0                                      // 000000002CCC: 7F020280
	v_mov_b32_e32 v66, 0                                       // 000000002CD0: 7E840280
	v_mov_b32_e32 v130, 0                                      // 000000002CD4: 7F040280
	v_mov_b32_e32 v67, 0                                       // 000000002CD8: 7E860280
	v_mov_b32_e32 v131, 0                                      // 000000002CDC: 7F060280
	v_mov_b32_e32 v68, 0                                       // 000000002CE0: 7E880280
	v_mov_b32_e32 v132, 0                                      // 000000002CE4: 7F080280
	v_mov_b32_e32 v69, 0                                       // 000000002CE8: 7E8A0280
	v_mov_b32_e32 v133, 0                                      // 000000002CEC: 7F0A0280
	v_mov_b32_e32 v70, 0                                       // 000000002CF0: 7E8C0280
	v_mov_b32_e32 v134, 0                                      // 000000002CF4: 7F0C0280
	v_mov_b32_e32 v71, 0                                       // 000000002CF8: 7E8E0280
	v_mov_b32_e32 v135, 0                                      // 000000002CFC: 7F0E0280
	v_mov_b32_e32 v72, 0                                       // 000000002D00: 7E900280
	v_mov_b32_e32 v136, 0                                      // 000000002D04: 7F100280
	v_mov_b32_e32 v73, 0                                       // 000000002D08: 7E920280
	v_mov_b32_e32 v137, 0                                      // 000000002D0C: 7F120280
	v_mov_b32_e32 v74, 0                                       // 000000002D10: 7E940280
	v_mov_b32_e32 v138, 0                                      // 000000002D14: 7F140280
	v_mov_b32_e32 v75, 0                                       // 000000002D18: 7E960280
	v_mov_b32_e32 v139, 0                                      // 000000002D1C: 7F160280
	v_mov_b32_e32 v76, 0                                       // 000000002D20: 7E980280
	v_mov_b32_e32 v140, 0                                      // 000000002D24: 7F180280
	v_mov_b32_e32 v77, 0                                       // 000000002D28: 7E9A0280
	v_mov_b32_e32 v141, 0                                      // 000000002D2C: 7F1A0280
	v_mov_b32_e32 v78, 0                                       // 000000002D30: 7E9C0280
	v_mov_b32_e32 v142, 0                                      // 000000002D34: 7F1C0280
	v_mov_b32_e32 v79, 0                                       // 000000002D38: 7E9E0280
	v_mov_b32_e32 v143, 0                                      // 000000002D3C: 7F1E0280
	v_mov_b32_e32 v80, 0                                       // 000000002D40: 7EA00280
	v_mov_b32_e32 v144, 0                                      // 000000002D44: 7F200280
	v_mov_b32_e32 v81, 0                                       // 000000002D48: 7EA20280
	v_mov_b32_e32 v145, 0                                      // 000000002D4C: 7F220280
	v_mov_b32_e32 v82, 0                                       // 000000002D50: 7EA40280
	v_mov_b32_e32 v146, 0                                      // 000000002D54: 7F240280
	v_mov_b32_e32 v83, 0                                       // 000000002D58: 7EA60280
	v_mov_b32_e32 v147, 0                                      // 000000002D5C: 7F260280
	v_mov_b32_e32 v84, 0                                       // 000000002D60: 7EA80280
	v_mov_b32_e32 v148, 0                                      // 000000002D64: 7F280280
	v_mov_b32_e32 v85, 0                                       // 000000002D68: 7EAA0280
	v_mov_b32_e32 v149, 0                                      // 000000002D6C: 7F2A0280
	v_mov_b32_e32 v86, 0                                       // 000000002D70: 7EAC0280
	v_mov_b32_e32 v150, 0                                      // 000000002D74: 7F2C0280
	v_mov_b32_e32 v87, 0                                       // 000000002D78: 7EAE0280
	v_mov_b32_e32 v151, 0                                      // 000000002D7C: 7F2E0280
	v_mov_b32_e32 v88, 0                                       // 000000002D80: 7EB00280
	v_mov_b32_e32 v152, 0                                      // 000000002D84: 7F300280
	v_mov_b32_e32 v89, 0                                       // 000000002D88: 7EB20280
	v_mov_b32_e32 v153, 0                                      // 000000002D8C: 7F320280
	v_mov_b32_e32 v90, 0                                       // 000000002D90: 7EB40280
	v_mov_b32_e32 v154, 0                                      // 000000002D94: 7F340280
	v_mov_b32_e32 v91, 0                                       // 000000002D98: 7EB60280
	v_mov_b32_e32 v155, 0                                      // 000000002D9C: 7F360280
	v_mov_b32_e32 v92, 0                                       // 000000002DA0: 7EB80280
	v_mov_b32_e32 v156, 0                                      // 000000002DA4: 7F380280
	v_mov_b32_e32 v93, 0                                       // 000000002DA8: 7EBA0280
	v_mov_b32_e32 v157, 0                                      // 000000002DAC: 7F3A0280
	v_mov_b32_e32 v94, 0                                       // 000000002DB0: 7EBC0280
	v_mov_b32_e32 v158, 0                                      // 000000002DB4: 7F3C0280
	v_mov_b32_e32 v95, 0                                       // 000000002DB8: 7EBE0280
	v_mov_b32_e32 v159, 0                                      // 000000002DBC: 7F3E0280
	v_mov_b32_e32 v96, 0                                       // 000000002DC0: 7EC00280
	v_mov_b32_e32 v160, 0                                      // 000000002DC4: 7F400280
	v_mov_b32_e32 v97, 0                                       // 000000002DC8: 7EC20280
	v_mov_b32_e32 v161, 0                                      // 000000002DCC: 7F420280
	v_mov_b32_e32 v98, 0                                       // 000000002DD0: 7EC40280
	v_mov_b32_e32 v162, 0                                      // 000000002DD4: 7F440280
	v_mov_b32_e32 v99, 0                                       // 000000002DD8: 7EC60280
	v_mov_b32_e32 v163, 0                                      // 000000002DDC: 7F460280
	v_mov_b32_e32 v100, 0                                      // 000000002DE0: 7EC80280
	v_mov_b32_e32 v164, 0                                      // 000000002DE4: 7F480280
	v_mov_b32_e32 v101, 0                                      // 000000002DE8: 7ECA0280
	v_mov_b32_e32 v165, 0                                      // 000000002DEC: 7F4A0280
	v_mov_b32_e32 v102, 0                                      // 000000002DF0: 7ECC0280
	v_mov_b32_e32 v166, 0                                      // 000000002DF4: 7F4C0280
	v_mov_b32_e32 v103, 0                                      // 000000002DF8: 7ECE0280
	v_mov_b32_e32 v167, 0                                      // 000000002DFC: 7F4E0280
	v_mov_b32_e32 v104, 0                                      // 000000002E00: 7ED00280
	v_mov_b32_e32 v168, 0                                      // 000000002E04: 7F500280
	v_mov_b32_e32 v105, 0                                      // 000000002E08: 7ED20280
	v_mov_b32_e32 v169, 0                                      // 000000002E0C: 7F520280
	v_mov_b32_e32 v106, 0                                      // 000000002E10: 7ED40280
	v_mov_b32_e32 v170, 0                                      // 000000002E14: 7F540280
	v_mov_b32_e32 v107, 0                                      // 000000002E18: 7ED60280
	v_mov_b32_e32 v171, 0                                      // 000000002E1C: 7F560280
	v_mov_b32_e32 v108, 0                                      // 000000002E20: 7ED80280
	v_mov_b32_e32 v172, 0                                      // 000000002E24: 7F580280
	v_mov_b32_e32 v109, 0                                      // 000000002E28: 7EDA0280
	v_mov_b32_e32 v173, 0                                      // 000000002E2C: 7F5A0280
	v_mov_b32_e32 v110, 0                                      // 000000002E30: 7EDC0280
	v_mov_b32_e32 v174, 0                                      // 000000002E34: 7F5C0280
	v_mov_b32_e32 v111, 0                                      // 000000002E38: 7EDE0280
	v_mov_b32_e32 v175, 0                                      // 000000002E3C: 7F5E0280
	v_mov_b32_e32 v112, 0                                      // 000000002E40: 7EE00280
	v_mov_b32_e32 v176, 0                                      // 000000002E44: 7F600280
	v_mov_b32_e32 v113, 0                                      // 000000002E48: 7EE20280
	v_mov_b32_e32 v177, 0                                      // 000000002E4C: 7F620280
	v_mov_b32_e32 v114, 0                                      // 000000002E50: 7EE40280
	v_mov_b32_e32 v178, 0                                      // 000000002E54: 7F640280
	v_mov_b32_e32 v115, 0                                      // 000000002E58: 7EE60280
	v_mov_b32_e32 v179, 0                                      // 000000002E5C: 7F660280
	v_mov_b32_e32 v116, 0                                      // 000000002E60: 7EE80280
	v_mov_b32_e32 v180, 0                                      // 000000002E64: 7F680280
	v_mov_b32_e32 v117, 0                                      // 000000002E68: 7EEA0280
	v_mov_b32_e32 v181, 0                                      // 000000002E6C: 7F6A0280
	v_mov_b32_e32 v118, 0                                      // 000000002E70: 7EEC0280
	v_mov_b32_e32 v182, 0                                      // 000000002E74: 7F6C0280
	v_mov_b32_e32 v119, 0                                      // 000000002E78: 7EEE0280
	v_mov_b32_e32 v183, 0                                      // 000000002E7C: 7F6E0280
	s_mul_i32 s60, s2, 0x100                                   // 000000002E80: 923CFF02 00000100
	s_cmp_eq_u32 s88, 0                                        // 000000002E88: BF068058
	s_cselect_b32 s61, 1, 4                                    // 000000002E8C: 853D8481
	s_mul_i32 s60, s60, s61                                    // 000000002E90: 923C3D3C
	s_mov_b32 s90, s8                                          // 000000002E94: BEDA0008
	s_mov_b32 s91, s9                                          // 000000002E98: BEDB0009
	s_add_u32 s8, s60, s8                                      // 000000002E9C: 8008083C
	s_addc_u32 s9, 0, s9                                       // 000000002EA0: 82090980
	v_lshrrev_b32_e32 v4, 4, v0                                // 000000002EA4: 20080084
	v_mul_lo_u32 v20, 34, v4                                   // 000000002EA8: D2850014 000208A2
	v_and_b32_e32 v4, 15, v0                                   // 000000002EB0: 2608008F
	v_mul_lo_u32 v5, 2, v4                                     // 000000002EB4: D2850005 00020882
	v_add_u32_e32 v20, v5, v20                                 // 000000002EBC: 68282905
	s_mul_i32 s60, s7, 0x88                                    // 000000002EC0: 923CFF07 00000088
	v_add_u32_e32 v20, s60, v20                                // 000000002EC8: 6828283C
	v_lshlrev_b32_e32 v20, 2, v20                              // 000000002ECC: 24282882
	v_and_b32_e32 v4, 31, v0                                   // 000000002ED0: 2608009F
	v_lshrrev_b32_e32 v4, 1, v4                                // 000000002ED4: 20080881
	v_mul_lo_u32 v21, 34, v4                                   // 000000002ED8: D2850015 000208A2
	v_lshrrev_b32_e32 v4, 5, v0                                // 000000002EE0: 20080085
	v_mul_lo_u32 v4, 8, v4                                     // 000000002EE4: D2850004 00020888
	v_add_u32_e32 v21, v21, v4                                 // 000000002EEC: 682A0915
	v_and_b32_e32 v5, 1, v0                                    // 000000002EF0: 260A0081
	v_add_u32_e32 v21, v5, v21                                 // 000000002EF4: 682A2B05
	s_mul_i32 s60, s7, 2                                       // 000000002EF8: 923C8207
	v_add_u32_e32 v21, s60, v21                                // 000000002EFC: 682A2A3C
	v_lshlrev_b32_e32 v21, 2, v21                              // 000000002F00: 242A2A82
	s_mul_i32 s60, s7, 0x820                                   // 000000002F04: 923CFF07 00000820
	s_add_u32 s48, 0, s60                                      // 000000002F0C: 80303C80
	s_add_u32 s49, 0x2080, s48                                 // 000000002F10: 803130FF 00002080
	v_lshrrev_b32_e32 v4, 4, v0                                // 000000002F18: 20080084
	v_lshlrev_b32_e32 v5, 2, v4                                // 000000002F1C: 240A0882
	v_and_b32_e32 v4, 15, v0                                   // 000000002F20: 2608008F
	v_lshrrev_b32_e32 v6, 2, v4                                // 000000002F24: 200C0882
	v_lshlrev_b32_e32 v6, 5, v6                                // 000000002F28: 240C0C85
	v_add_u32_e32 v5, v6, v5                                   // 000000002F2C: 680A0B06
	v_and_b32_e32 v4, 3, v0                                    // 000000002F30: 26080083
	v_mul_u32_u24_e32 v6, 0x208, v4                            // 000000002F34: 100C08FF 00000208
	v_add_u32_e32 v5, v6, v5                                   // 000000002F3C: 680A0B06
	v_lshlrev_b32_e32 v2, 2, v5                                // 000000002F40: 24040A82
	s_waitcnt lgkmcnt(0)                                       // 000000002F44: BF8CC07F
	s_mul_i32 s60, s2, 0x100                                   // 000000002F48: 923CFF02 00000100
	s_mul_i32 s60, s60, s69                                    // 000000002F50: 923C453C
	s_mul_i32 s61, s5, s72                                     // 000000002F54: 923D4805
	s_add_u32 s60, s61, s60                                    // 000000002F58: 803C3C3D
	s_add_u32 s24, s60, s24                                    // 000000002F5C: 8018183C
	s_addc_u32 s25, 0, s25                                     // 000000002F60: 82191980
	s_lshr_b32 s60, s64, s88                                   // 000000002F64: 8F3C5840
	s_mul_i32 s60, s4, s60                                     // 000000002F68: 923C3C04
	s_lshr_b32 s60, s60, 7                                     // 000000002F6C: 8F3C873C
	s_mul_i32 s60, s60, 0x800                                  // 000000002F70: 923CFF3C 00000800
	s_add_u32 s24, s60, s24                                    // 000000002F78: 8018183C
	s_addc_u32 s25, 0, s25                                     // 000000002F7C: 82191980
	s_lshr_b32 s60, s69, s88                                   // 000000002F80: 8F3C5845
	s_mul_i32 s60, s4, s60                                     // 000000002F84: 923C3C04
	s_add_u32 s20, s60, s20                                    // 000000002F88: 8014143C
	s_addc_u32 s21, 0, s21                                     // 000000002F8C: 82151580
	s_mul_i32 s60, s7, 16                                      // 000000002F90: 923C9007
	s_mul_i32 s60, s60, s69                                    // 000000002F94: 923C453C
	v_lshlrev_b32_e32 v52, 4, v0                               // 000000002F98: 24680084
	v_add_u32_e32 v52, s60, v52                                // 000000002F9C: 6868683C
	s_mul_i32 s60, 64, s69                                     // 000000002FA0: 923C45C0
	v_add_u32_e32 v53, s60, v52                                // 000000002FA4: 686A683C
	v_add_u32_e32 v54, s60, v53                                // 000000002FA8: 686C6A3C
	v_add_u32_e32 v55, s60, v54                                // 000000002FAC: 686E6C3C
	s_mov_b32 s84, s24                                         // 000000002FB0: BED40018
	s_mov_b32 s85, s25                                         // 000000002FB4: BED50019
	s_mov_b32 s86, s26                                         // 000000002FB8: BED6001A
	s_mov_b32 s87, s27                                         // 000000002FBC: BED7001B
	s_mul_i32 s60, s69, s65                                    // 000000002FC0: 923C4145
	s_add_u32 s84, s60, s84                                    // 000000002FC4: 8054543C
	s_addc_u32 s85, 0, s85                                     // 000000002FC8: 82555580
	s_lshr_b32 s60, s64, 7                                     // 000000002FCC: 8F3C8740
	s_mul_i32 s61, s60, 4                                      // 000000002FD0: 923D843C
	v_and_b32_e32 v22, 15, v0                                  // 000000002FD4: 262C008F
	v_mul_lo_u32 v22, v22, s61                                 // 000000002FD8: D2850016 00007B16
	s_lshr_b32 s60, s65, 7                                     // 000000002FE0: 8F3C8741
	s_mul_i32 s60, s60, s61                                    // 000000002FE4: 923C3D3C
	v_add_u32_e64 v23, v22, s60                                // 000000002FE8: D1340017 00007916
	s_mul_i32 s60, s2, 2                                       // 000000002FF0: 923C8202
	s_mul_i32 s60, s60, s61                                    // 000000002FF4: 923C3D3C
	s_mul_i32 s61, s5, s74                                     // 000000002FF8: 923D4A05
	s_add_u32 s61, s61, s60                                    // 000000002FFC: 803D3C3D
	s_add_u32 s32, s61, s32                                    // 000000003000: 8020203D
	s_addc_u32 s33, 0, s33                                     // 000000003004: 82212180
	s_lshr_b32 s60, s64, 7                                     // 000000003008: 8F3C8740
	s_lshr_b32 s60, s60, s88                                   // 00000000300C: 8F3C583C
	s_mul_i32 s60, s4, s60                                     // 000000003010: 923C3C04
	s_mul_i32 s61, s60, 4                                      // 000000003014: 923D843C
	s_add_u32 s32, s61, s32                                    // 000000003018: 8020203D
	s_addc_u32 s33, 0, s33                                     // 00000000301C: 82212180
	s_lshl_b32 s62, s66, 2                                     // 000000003020: 8E3E8242
	s_mul_i32 s62, s60, s62                                    // 000000003024: 923E3E3C
	s_add_u32 s28, s62, s28                                    // 000000003028: 801C1C3E
	s_addc_u32 s29, 0, s29                                     // 00000000302C: 821D1D80
	s_mov_b32 s4, 4                                            // 000000003030: BE840084
	s_mov_b32 s57, 0x80                                        // 000000003034: BEB900FF 00000080
	s_mov_b32 s58, 0x800                                       // 00000000303C: BEBA00FF 00000800
	s_mov_b32 s83, s58                                         // 000000003044: BED3003A
	s_mov_b32 s52, 0x7060302                                   // 000000003048: BEB400FF 07060302
	s_mov_b32 s53, 0x400                                       // 000000003050: BEB500FF 00000400
	s_mov_b32 s54, 0x40100                                     // 000000003058: BEB600FF 00040100
	s_mov_b32 s55, 0x4020100                                   // 000000003060: BEB700FF 04020100
	s_mov_b32 s6, 0x3fb8aa3b                                   // 000000003068: BE8600FF 3FB8AA3B
	s_mov_b32 s78, 0xbd92220c                                  // 000000003070: BECE00FF BD92220C
	s_mov_b32 s79, 0xbd92220c                                  // 000000003078: BECF00FF BD92220C
	s_mov_b32 m0, s48                                          // 000000003080: BEFC0030
	v_mov_b32_e32 v1, 0xbfcc4231                               // 000000003084: 7E0202FF BFCC4231
	v_mov_b32_e32 v17, 0xffff0000                              // 00000000308C: 7E2202FF FFFF0000
	v_mov_b32_e32 v18, 0x7fff0000                              // 000000003094: 7E2402FF 7FFF0000
	v_mov_b32_e32 v19, 0x7fff                                  // 00000000309C: 7E2602FF 00007FFF
	s_waitcnt vmcnt(0) expcnt(0) lgkmcnt(0)                    // 0000000030A4: BF8C0000
	v_lshrrev_b32_e32 v4, 5, v0                                // 0000000030A8: 20080085
	v_xor_b32_e32 v5, 1, v4                                    // 0000000030AC: 2A0A0881
	v_readlane_b32 s82, v3, 0                                  // 0000000030B0: D2890052 00010103
	s_and_b32 s82, s82, 0xffffff                               // 0000000030B8: 8652FF52 00FFFFFF
	v_mul_lo_u32 v6, v5, s82                                   // 0000000030C0: D2850006 0000A505
	v_readlane_b32 s82, v3, 1                                  // 0000000030C8: D2890052 00010303
	s_and_b32 s82, s82, 0xffffff                               // 0000000030D0: 8652FF52 00FFFFFF
	v_mul_lo_u32 v7, v4, s82                                   // 0000000030D8: D2850007 0000A504
	v_add_u32_e32 v44, v6, v7                                  // 0000000030E0: 68580F06
	v_mul_lo_u32 v44, v44, s68                                 // 0000000030E4: D285002C 0000892C
	v_readlane_b32 s82, v3, 2                                  // 0000000030EC: D2890052 00010503
	s_and_b32 s82, s82, 0xffffff                               // 0000000030F4: 8652FF52 00FFFFFF
	v_mul_lo_u32 v6, v5, s82                                   // 0000000030FC: D2850006 0000A505
	v_readlane_b32 s82, v3, 3                                  // 000000003104: D2890052 00010703
	s_and_b32 s82, s82, 0xffffff                               // 00000000310C: 8652FF52 00FFFFFF
	v_mul_lo_u32 v7, v4, s82                                   // 000000003114: D2850007 0000A504
	v_add_u32_e32 v45, v6, v7                                  // 00000000311C: 685A0F06
	v_mul_lo_u32 v45, v45, s68                                 // 000000003120: D285002D 0000892D
	v_readlane_b32 s82, v3, 4                                  // 000000003128: D2890052 00010903
	s_and_b32 s82, s82, 0xffffff                               // 000000003130: 8652FF52 00FFFFFF
	v_mul_lo_u32 v6, v5, s82                                   // 000000003138: D2850006 0000A505
	v_readlane_b32 s82, v3, 5                                  // 000000003140: D2890052 00010B03
	s_and_b32 s82, s82, 0xffffff                               // 000000003148: 8652FF52 00FFFFFF
	v_mul_lo_u32 v7, v4, s82                                   // 000000003150: D2850007 0000A504
	v_add_u32_e32 v46, v6, v7                                  // 000000003158: 685C0F06
	v_mul_lo_u32 v46, v46, s68                                 // 00000000315C: D285002E 0000892E
	v_readlane_b32 s82, v3, 6                                  // 000000003164: D2890052 00010D03
	s_and_b32 s82, s82, 0xffffff                               // 00000000316C: 8652FF52 00FFFFFF
	v_mul_lo_u32 v6, v5, s82                                   // 000000003174: D2850006 0000A505
	v_readlane_b32 s82, v3, 7                                  // 00000000317C: D2890052 00010F03
	s_and_b32 s82, s82, 0xffffff                               // 000000003184: 8652FF52 00FFFFFF
	v_mul_lo_u32 v7, v4, s82                                   // 00000000318C: D2850007 0000A504
	v_add_u32_e32 v47, v6, v7                                  // 000000003194: 685E0F06
	v_mul_lo_u32 v47, v47, s68                                 // 000000003198: D285002F 0000892F
	v_readlane_b32 s82, v3, 8                                  // 0000000031A0: D2890052 00011103
	s_and_b32 s82, s82, 0xffffff                               // 0000000031A8: 8652FF52 00FFFFFF
	v_mul_lo_u32 v6, v5, s82                                   // 0000000031B0: D2850006 0000A505
	v_readlane_b32 s82, v3, 9                                  // 0000000031B8: D2890052 00011303
	s_and_b32 s82, s82, 0xffffff                               // 0000000031C0: 8652FF52 00FFFFFF
	v_mul_lo_u32 v7, v4, s82                                   // 0000000031C8: D2850007 0000A504
	v_add_u32_e32 v48, v6, v7                                  // 0000000031D0: 68600F06
	v_mul_lo_u32 v48, v48, s68                                 // 0000000031D4: D2850030 00008930
	v_readlane_b32 s82, v3, 10                                 // 0000000031DC: D2890052 00011503
	s_and_b32 s82, s82, 0xffffff                               // 0000000031E4: 8652FF52 00FFFFFF
	v_mul_lo_u32 v6, v5, s82                                   // 0000000031EC: D2850006 0000A505
	v_readlane_b32 s82, v3, 11                                 // 0000000031F4: D2890052 00011703
	s_and_b32 s82, s82, 0xffffff                               // 0000000031FC: 8652FF52 00FFFFFF
	v_mul_lo_u32 v7, v4, s82                                   // 000000003204: D2850007 0000A504
	v_add_u32_e32 v49, v6, v7                                  // 00000000320C: 68620F06
	v_mul_lo_u32 v49, v49, s68                                 // 000000003210: D2850031 00008931
	v_readlane_b32 s82, v3, 12                                 // 000000003218: D2890052 00011903
	s_and_b32 s82, s82, 0xffffff                               // 000000003220: 8652FF52 00FFFFFF
	v_mul_lo_u32 v6, v5, s82                                   // 000000003228: D2850006 0000A505
	v_readlane_b32 s82, v3, 13                                 // 000000003230: D2890052 00011B03
	s_and_b32 s82, s82, 0xffffff                               // 000000003238: 8652FF52 00FFFFFF
	v_mul_lo_u32 v7, v4, s82                                   // 000000003240: D2850007 0000A504
	v_add_u32_e32 v50, v6, v7                                  // 000000003248: 68640F06
	v_mul_lo_u32 v50, v50, s68                                 // 00000000324C: D2850032 00008932
	v_readlane_b32 s82, v3, 14                                 // 000000003254: D2890052 00011D03
	s_and_b32 s82, s82, 0xffffff                               // 00000000325C: 8652FF52 00FFFFFF
	v_mul_lo_u32 v6, v5, s82                                   // 000000003264: D2850006 0000A505
	v_readlane_b32 s82, v3, 15                                 // 00000000326C: D2890052 00011F03
	s_and_b32 s82, s82, 0xffffff                               // 000000003274: 8652FF52 00FFFFFF
	v_mul_lo_u32 v7, v4, s82                                   // 00000000327C: D2850007 0000A504
	v_add_u32_e32 v51, v6, v7                                  // 000000003284: 68660F06
	v_mul_lo_u32 v51, v51, s68                                 // 000000003288: D2850033 00008933
	v_and_b32_e32 v4, 31, v0                                   // 000000003290: 2608009F
	v_lshlrev_b32_e32 v4, 2, v4                                // 000000003294: 24080882
	v_add_u32_e32 v44, v44, v4                                 // 000000003298: 6858092C
	v_add_u32_e32 v45, v45, v4                                 // 00000000329C: 685A092D
	v_add_u32_e32 v46, v46, v4                                 // 0000000032A0: 685C092E
	v_add_u32_e32 v47, v47, v4                                 // 0000000032A4: 685E092F
	v_add_u32_e32 v48, v48, v4                                 // 0000000032A8: 68600930
	v_add_u32_e32 v49, v49, v4                                 // 0000000032AC: 68620931
	v_add_u32_e32 v50, v50, v4                                 // 0000000032B0: 68640932
	v_add_u32_e32 v51, v51, v4                                 // 0000000032B4: 68660933
	v_and_b32_e32 v28, 0xffffff, v28                           // 0000000032B8: 263838FF 00FFFFFF
	v_lshlrev_b32_e32 v28, 2, v28                              // 0000000032C0: 24383882
	v_and_b32_e32 v29, 0xffffff, v29                           // 0000000032C4: 263A3AFF 00FFFFFF
	v_lshlrev_b32_e32 v29, 2, v29                              // 0000000032CC: 243A3A82
	v_and_b32_e32 v30, 0xffffff, v30                           // 0000000032D0: 263C3CFF 00FFFFFF
	v_lshlrev_b32_e32 v30, 2, v30                              // 0000000032D8: 243C3C82
	v_and_b32_e32 v31, 0xffffff, v31                           // 0000000032DC: 263E3EFF 00FFFFFF
	v_lshlrev_b32_e32 v31, 2, v31                              // 0000000032E4: 243E3E82
	s_lshl_b32 s3, s66, 2                                      // 0000000032E8: 8E038242
	buffer_load_dword v44, s[20:23], 0 offen lds               // 0000000032EC: E0511000 8005002C
	s_add_u32 m0, 0x100, s48                                   // 0000000032F4: 807C30FF 00000100
	buffer_load_dword v45, s[20:23], 0 offen lds               // 0000000032FC: E0511000 8005002D
	s_add_u32 m0, 0x200, s48                                   // 000000003304: 807C30FF 00000200
	buffer_load_dword v46, s[20:23], 0 offen lds               // 00000000330C: E0511000 8005002E
	s_add_u32 m0, 0x300, s48                                   // 000000003314: 807C30FF 00000300
	buffer_load_dword v47, s[20:23], 0 offen lds               // 00000000331C: E0511000 8005002F
	s_add_u32 m0, 0x400, s48                                   // 000000003324: 807C30FF 00000400
	buffer_load_dword v48, s[20:23], 0 offen lds               // 00000000332C: E0511000 80050030
	s_add_u32 m0, 0x500, s48                                   // 000000003334: 807C30FF 00000500
	buffer_load_dword v49, s[20:23], 0 offen lds               // 00000000333C: E0511000 80050031
	s_add_u32 m0, 0x600, s48                                   // 000000003344: 807C30FF 00000600
	buffer_load_dword v50, s[20:23], 0 offen lds               // 00000000334C: E0511000 80050032
	s_add_u32 m0, 0x700, s48                                   // 000000003354: 807C30FF 00000700
	buffer_load_dword v51, s[20:23], 0 offen lds               // 00000000335C: E0511000 80050033
	s_add_u32 m0, 0, s49                                       // 000000003364: 807C3180
	s_add_u32 s20, s57, s20                                    // 000000003368: 80141439
	s_addc_u32 s21, 0, s21                                     // 00000000336C: 82151580
	buffer_load_dword v32, v28, s[28:31], 0 offen              // 000000003370: E0501000 8007201C
	buffer_load_dword v33, v29, s[28:31], 0 offen              // 000000003378: E0501000 8007211D
	buffer_load_dword v34, v30, s[28:31], 0 offen              // 000000003380: E0501000 8007221E
	buffer_load_dword v35, v31, s[28:31], 0 offen              // 000000003388: E0501000 8007231F
	s_add_u32 s28, s3, s28                                     // 000000003390: 801C1C03
	s_addc_u32 s29, 0, s29                                     // 000000003394: 821D1D80
	buffer_load_dword v44, s[20:23], 0 offen lds               // 000000003398: E0511000 8005002C
	s_add_u32 m0, 0x100, s49                                   // 0000000033A0: 807C31FF 00000100
	buffer_load_dword v45, s[20:23], 0 offen lds               // 0000000033A8: E0511000 8005002D
	s_add_u32 m0, 0x200, s49                                   // 0000000033B0: 807C31FF 00000200
	buffer_load_dword v46, s[20:23], 0 offen lds               // 0000000033B8: E0511000 8005002E
	s_add_u32 m0, 0x300, s49                                   // 0000000033C0: 807C31FF 00000300
	buffer_load_dword v47, s[20:23], 0 offen lds               // 0000000033C8: E0511000 8005002F
	s_add_u32 m0, 0x400, s49                                   // 0000000033D0: 807C31FF 00000400
	buffer_load_dword v48, s[20:23], 0 offen lds               // 0000000033D8: E0511000 80050030
	s_add_u32 m0, 0x500, s49                                   // 0000000033E0: 807C31FF 00000500
	buffer_load_dword v49, s[20:23], 0 offen lds               // 0000000033E8: E0511000 80050031
	s_add_u32 m0, 0x600, s49                                   // 0000000033F0: 807C31FF 00000600
	buffer_load_dword v50, s[20:23], 0 offen lds               // 0000000033F8: E0511000 80050032
	s_add_u32 m0, 0x700, s49                                   // 000000003400: 807C31FF 00000700
	buffer_load_dword v51, s[20:23], 0 offen lds               // 000000003408: E0511000 80050033
	s_add_u32 m0, 0, s48                                       // 000000003410: 807C3080
	s_add_u32 s20, s57, s20                                    // 000000003414: 80141439
	s_addc_u32 s21, 0, s21                                     // 000000003418: 82151580
	buffer_load_dword v36, v28, s[28:31], 0 offen              // 00000000341C: E0501000 8007241C
	buffer_load_dword v37, v29, s[28:31], 0 offen              // 000000003424: E0501000 8007251D
	buffer_load_dword v38, v30, s[28:31], 0 offen              // 00000000342C: E0501000 8007261E
	buffer_load_dword v39, v31, s[28:31], 0 offen              // 000000003434: E0501000 8007271F
	s_add_u32 s28, s3, s28                                     // 00000000343C: 801C1C03
	s_addc_u32 s29, 0, s29                                     // 000000003440: 821D1D80
	buffer_load_dword v24, v22, s[32:35], 0 offen              // 000000003444: E0501000 80081816
	buffer_load_dwordx4 a[64:67], v52, s[24:27], 0 offen       // 00000000344C: E05C1000 80864034
	buffer_load_dwordx4 a[68:71], v52, s[24:27], 0 offen offset:1024// 000000003454: E05C1400 80864434
	buffer_load_dwordx4 a[72:75], v53, s[24:27], 0 offen       // 00000000345C: E05C1000 80864835
	buffer_load_dwordx4 a[76:79], v53, s[24:27], 0 offen offset:1024// 000000003464: E05C1400 80864C35
	buffer_load_dwordx4 a[80:83], v54, s[24:27], 0 offen       // 00000000346C: E05C1000 80865036
	buffer_load_dwordx4 a[84:87], v54, s[24:27], 0 offen offset:1024// 000000003474: E05C1400 80865436
	buffer_load_dwordx4 a[88:91], v55, s[24:27], 0 offen       // 00000000347C: E05C1000 80865837
	buffer_load_dwordx4 a[92:95], v55, s[24:27], 0 offen offset:1024// 000000003484: E05C1400 80865C37
	s_add_u32 s24, s58, s24                                    // 00000000348C: 8018183A
	s_addc_u32 s25, 0, s25                                     // 000000003490: 82191980
	s_waitcnt vmcnt(25)                                        // 000000003494: BF8C4F79
	s_barrier                                                  // 000000003498: BF8A0000
	ds_read_b128 a[0:3], v2                                    // 00000000349C: DBFE0000 00000002
	ds_read_b128 a[4:7], v2 offset:64                          // 0000000034A4: DBFE0040 04000002
	ds_read_b128 a[8:11], v2 offset:512                        // 0000000034AC: DBFE0200 08000002
	ds_read_b128 a[12:15], v2 offset:576                       // 0000000034B4: DBFE0240 0C000002
	ds_read_b128 a[16:19], v2 offset:1024                      // 0000000034BC: DBFE0400 10000002
	ds_read_b128 a[20:23], v2 offset:1088                      // 0000000034C4: DBFE0440 14000002
	ds_read_b128 a[24:27], v2 offset:1536                      // 0000000034CC: DBFE0600 18000002
	ds_read_b128 a[28:31], v2 offset:1600                      // 0000000034D4: DBFE0640 1C000002
	s_cmp_lt_i32 s7, 2                                         // 0000000034DC: BF048207
	s_cbranch_scc0 label_16CC                                  // 0000000034E0: BF841410

00000000000034e4 <label_02B9>:
	s_waitcnt vmcnt(6) lgkmcnt(0)                              // 0000000034E4: BF8C0076
	s_barrier                                                  // 0000000034E8: BF8A0000
	v_mov_b32_e32 v40, v32                                     // 0000000034EC: 7E500320
	v_mov_b32_e32 v41, v33                                     // 0000000034F0: 7E520321
	v_mov_b32_e32 v42, v34                                     // 0000000034F4: 7E540322
	v_mov_b32_e32 v43, v35                                     // 0000000034F8: 7E560323
	v_mul_f32_dpp v4, v24, v40 row_newbcast:0 row_mask:0xf bank_mask:0xf// 0000000034FC: 0A0850FA FF015018
	v_mfma_f32_16x16x32_fp8_fp8 v[8:11], a[64:65], a[0:1], 0   // 000000003504: D3F30008 1A020140
	buffer_load_dword v27, v23, s[32:35], 0 offen              // 00000000350C: E0501000 80081B17
	v_mfma_f32_16x16x32_fp8_fp8 v[8:11], a[66:67], a[2:3], v[8:11]// 000000003514: D3F30008 1C220542
	buffer_load_dwordx4 a[96:99], v52, s[84:87], 0 offen       // 00000000351C: E05C1000 80956034
	v_mfma_f32_16x16x32_fp8_fp8 v[8:11], a[68:69], a[4:5], v[8:11]// 000000003524: D3F30008 1C220944
	v_mfma_f32_16x16x32_fp8_fp8 v[8:11], a[70:71], a[6:7], v[8:11]// 00000000352C: D3F30008 1C220D46
	v_mul_f32_dpp v6, v24, v41 row_newbcast:0 row_mask:0xf bank_mask:0xf// 000000003534: 0A0C52FA FF015018
	v_mfma_f32_16x16x32_fp8_fp8 v[12:15], a[64:65], a[8:9], 0  // 00000000353C: D3F3000C 1A021140
	v_mfma_f32_16x16x32_fp8_fp8 v[12:15], a[66:67], a[10:11], v[12:15]// 000000003544: D3F3000C 1C321542
	buffer_load_dwordx4 a[100:103], v52, s[84:87], 0 offen offset:1024// 00000000354C: E05C1400 80956434
	v_mfma_f32_16x16x32_fp8_fp8 v[12:15], a[68:69], a[12:13], v[12:15]// 000000003554: D3F3000C 1C321944
	v_mfma_f32_16x16x32_fp8_fp8 v[12:15], a[70:71], a[14:15], v[12:15]// 00000000355C: D3F3000C 1C321D46
	v_fma_f32 v56, v8, v4, v56                                 // 000000003564: D1CB0038 04E20908
	v_fma_f32 v57, v9, v4, v57                                 // 00000000356C: D1CB0039 04E60909
	v_fma_f32 v58, v10, v4, v58                                // 000000003574: D1CB003A 04EA090A
	v_fma_f32 v59, v11, v4, v59                                // 00000000357C: D1CB003B 04EE090B
	v_mul_f32_dpp v4, v24, v42 row_newbcast:0 row_mask:0xf bank_mask:0xf// 000000003584: 0A0854FA FF015018
	v_mfma_f32_16x16x32_fp8_fp8 v[8:11], a[64:65], a[16:17], 0 // 00000000358C: D3F30008 1A022140
	v_mfma_f32_16x16x32_fp8_fp8 v[8:11], a[66:67], a[18:19], v[8:11]// 000000003594: D3F30008 1C222542
	buffer_load_dwordx4 a[104:107], v53, s[84:87], 0 offen     // 00000000359C: E05C1000 80956835
	v_mfma_f32_16x16x32_fp8_fp8 v[8:11], a[68:69], a[20:21], v[8:11]// 0000000035A4: D3F30008 1C222944
	v_mfma_f32_16x16x32_fp8_fp8 v[8:11], a[70:71], a[22:23], v[8:11]// 0000000035AC: D3F30008 1C222D46
	v_fma_f32 v60, v12, v6, v60                                // 0000000035B4: D1CB003C 04F20D0C
	v_fma_f32 v61, v13, v6, v61                                // 0000000035BC: D1CB003D 04F60D0D
	v_fma_f32 v62, v14, v6, v62                                // 0000000035C4: D1CB003E 04FA0D0E
	v_fma_f32 v63, v15, v6, v63                                // 0000000035CC: D1CB003F 04FE0D0F
	v_mul_f32_dpp v6, v24, v43 row_newbcast:0 row_mask:0xf bank_mask:0xf// 0000000035D4: 0A0C56FA FF015018
	v_mfma_f32_16x16x32_fp8_fp8 v[12:15], a[64:65], a[24:25], 0// 0000000035DC: D3F3000C 1A023140
	v_mfma_f32_16x16x32_fp8_fp8 v[12:15], a[66:67], a[26:27], v[12:15]// 0000000035E4: D3F3000C 1C323542
	buffer_load_dwordx4 a[108:111], v53, s[84:87], 0 offen offset:1024// 0000000035EC: E05C1400 80956C35
	v_mfma_f32_16x16x32_fp8_fp8 v[12:15], a[68:69], a[28:29], v[12:15]// 0000000035F4: D3F3000C 1C323944
	v_mfma_f32_16x16x32_fp8_fp8 v[12:15], a[70:71], a[30:31], v[12:15]// 0000000035FC: D3F3000C 1C323D46
	v_fma_f32 v64, v8, v4, v64                                 // 000000003604: D1CB0040 05020908
	v_fma_f32 v65, v9, v4, v65                                 // 00000000360C: D1CB0041 05060909
	v_fma_f32 v66, v10, v4, v66                                // 000000003614: D1CB0042 050A090A
	v_fma_f32 v67, v11, v4, v67                                // 00000000361C: D1CB0043 050E090B
	s_waitcnt vmcnt(9)                                         // 000000003624: BF8C0F79
	v_mul_f32_dpp v4, v24, v40 row_newbcast:0 row_mask:0xf bank_mask:0xf// 000000003628: 0A0850FA FF015018
	v_mfma_f32_16x16x32_fp8_fp8 v[8:11], a[72:73], a[0:1], 0   // 000000003630: D3F30008 1A020148
	v_mfma_f32_16x16x32_fp8_fp8 v[8:11], a[74:75], a[2:3], v[8:11]// 000000003638: D3F30008 1C22054A
	buffer_load_dwordx4 a[112:115], v54, s[84:87], 0 offen     // 000000003640: E05C1000 80957036
	v_mfma_f32_16x16x32_fp8_fp8 v[8:11], a[76:77], a[4:5], v[8:11]// 000000003648: D3F30008 1C22094C
	v_mfma_f32_16x16x32_fp8_fp8 v[8:11], a[78:79], a[6:7], v[8:11]// 000000003650: D3F30008 1C220D4E
	v_fma_f32 v68, v12, v6, v68                                // 000000003658: D1CB0044 05120D0C
	v_fma_f32 v69, v13, v6, v69                                // 000000003660: D1CB0045 05160D0D
	v_fma_f32 v70, v14, v6, v70                                // 000000003668: D1CB0046 051A0D0E
	v_fma_f32 v71, v15, v6, v71                                // 000000003670: D1CB0047 051E0D0F
	v_mul_f32_dpp v6, v24, v41 row_newbcast:0 row_mask:0xf bank_mask:0xf// 000000003678: 0A0C52FA FF015018
	v_mfma_f32_16x16x32_fp8_fp8 v[12:15], a[72:73], a[8:9], 0  // 000000003680: D3F3000C 1A021148
	v_mfma_f32_16x16x32_fp8_fp8 v[12:15], a[74:75], a[10:11], v[12:15]// 000000003688: D3F3000C 1C32154A
	buffer_load_dwordx4 a[116:119], v54, s[84:87], 0 offen offset:1024// 000000003690: E05C1400 80957436
	v_mfma_f32_16x16x32_fp8_fp8 v[12:15], a[76:77], a[12:13], v[12:15]// 000000003698: D3F3000C 1C32194C
	v_mfma_f32_16x16x32_fp8_fp8 v[12:15], a[78:79], a[14:15], v[12:15]// 0000000036A0: D3F3000C 1C321D4E
	v_fma_f32 v72, v8, v4, v72                                 // 0000000036A8: D1CB0048 05220908
	v_fma_f32 v73, v9, v4, v73                                 // 0000000036B0: D1CB0049 05260909
	v_fma_f32 v74, v10, v4, v74                                // 0000000036B8: D1CB004A 052A090A
	v_fma_f32 v75, v11, v4, v75                                // 0000000036C0: D1CB004B 052E090B
	v_mul_f32_dpp v4, v24, v42 row_newbcast:0 row_mask:0xf bank_mask:0xf// 0000000036C8: 0A0854FA FF015018
	v_mfma_f32_16x16x32_fp8_fp8 v[8:11], a[72:73], a[16:17], 0 // 0000000036D0: D3F30008 1A022148
	v_mfma_f32_16x16x32_fp8_fp8 v[8:11], a[74:75], a[18:19], v[8:11]// 0000000036D8: D3F30008 1C22254A
	buffer_load_dwordx4 a[120:123], v55, s[84:87], 0 offen     // 0000000036E0: E05C1000 80957837
	v_mfma_f32_16x16x32_fp8_fp8 v[8:11], a[76:77], a[20:21], v[8:11]// 0000000036E8: D3F30008 1C22294C
	v_mfma_f32_16x16x32_fp8_fp8 v[8:11], a[78:79], a[22:23], v[8:11]// 0000000036F0: D3F30008 1C222D4E
	v_fma_f32 v76, v12, v6, v76                                // 0000000036F8: D1CB004C 05320D0C
	v_fma_f32 v77, v13, v6, v77                                // 000000003700: D1CB004D 05360D0D
	v_fma_f32 v78, v14, v6, v78                                // 000000003708: D1CB004E 053A0D0E
	v_fma_f32 v79, v15, v6, v79                                // 000000003710: D1CB004F 053E0D0F
	v_mul_f32_dpp v6, v24, v43 row_newbcast:0 row_mask:0xf bank_mask:0xf// 000000003718: 0A0C56FA FF015018
	v_mfma_f32_16x16x32_fp8_fp8 v[12:15], a[72:73], a[24:25], 0// 000000003720: D3F3000C 1A023148
	v_mfma_f32_16x16x32_fp8_fp8 v[12:15], a[74:75], a[26:27], v[12:15]// 000000003728: D3F3000C 1C32354A
	buffer_load_dwordx4 a[124:127], v55, s[84:87], 0 offen offset:1024// 000000003730: E05C1400 80957C37
	buffer_load_dword v44, s[20:23], 0 offen lds               // 000000003738: E0511000 8005002C
	s_add_u32 m0, 0x100, s48                                   // 000000003740: 807C30FF 00000100
	v_mfma_f32_16x16x32_fp8_fp8 v[12:15], a[76:77], a[28:29], v[12:15]// 000000003748: D3F3000C 1C32394C
	v_mfma_f32_16x16x32_fp8_fp8 v[12:15], a[78:79], a[30:31], v[12:15]// 000000003750: D3F3000C 1C323D4E
	buffer_load_dword v45, s[20:23], 0 offen lds               // 000000003758: E0511000 8005002D
	s_add_u32 m0, 0x200, s48                                   // 000000003760: 807C30FF 00000200
	v_fma_f32 v80, v8, v4, v80                                 // 000000003768: D1CB0050 05420908
	v_fma_f32 v81, v9, v4, v81                                 // 000000003770: D1CB0051 05460909
	v_fma_f32 v82, v10, v4, v82                                // 000000003778: D1CB0052 054A090A
	v_fma_f32 v83, v11, v4, v83                                // 000000003780: D1CB0053 054E090B
	s_waitcnt vmcnt(13)                                        // 000000003788: BF8C0F7D
	v_mul_f32_dpp v4, v24, v40 row_newbcast:1 row_mask:0xf bank_mask:0xf// 00000000378C: 0A0850FA FF015118
	v_mfma_f32_16x16x32_fp8_fp8 v[8:11], a[80:81], a[0:1], 0   // 000000003794: D3F30008 1A020150
	v_mfma_f32_16x16x32_fp8_fp8 v[8:11], a[82:83], a[2:3], v[8:11]// 00000000379C: D3F30008 1C220552
	buffer_load_dword v46, s[20:23], 0 offen lds               // 0000000037A4: E0511000 8005002E
	s_add_u32 m0, 0x300, s48                                   // 0000000037AC: 807C30FF 00000300
	v_mfma_f32_16x16x32_fp8_fp8 v[8:11], a[84:85], a[4:5], v[8:11]// 0000000037B4: D3F30008 1C220954
	v_mfma_f32_16x16x32_fp8_fp8 v[8:11], a[86:87], a[6:7], v[8:11]// 0000000037BC: D3F30008 1C220D56
	buffer_load_dword v47, s[20:23], 0 offen lds               // 0000000037C4: E0511000 8005002F
	s_add_u32 m0, 0x400, s48                                   // 0000000037CC: 807C30FF 00000400
	v_fma_f32 v84, v12, v6, v84                                // 0000000037D4: D1CB0054 05520D0C
	v_fma_f32 v85, v13, v6, v85                                // 0000000037DC: D1CB0055 05560D0D
	v_fma_f32 v86, v14, v6, v86                                // 0000000037E4: D1CB0056 055A0D0E
	v_fma_f32 v87, v15, v6, v87                                // 0000000037EC: D1CB0057 055E0D0F
	v_mul_f32_dpp v6, v24, v41 row_newbcast:1 row_mask:0xf bank_mask:0xf// 0000000037F4: 0A0C52FA FF015118
	v_mfma_f32_16x16x32_fp8_fp8 v[12:15], a[80:81], a[8:9], 0  // 0000000037FC: D3F3000C 1A021150
	v_mfma_f32_16x16x32_fp8_fp8 v[12:15], a[82:83], a[10:11], v[12:15]// 000000003804: D3F3000C 1C321552
	buffer_load_dword v48, s[20:23], 0 offen lds               // 00000000380C: E0511000 80050030
	s_add_u32 m0, 0x500, s48                                   // 000000003814: 807C30FF 00000500
	v_mfma_f32_16x16x32_fp8_fp8 v[12:15], a[84:85], a[12:13], v[12:15]// 00000000381C: D3F3000C 1C321954
	v_mfma_f32_16x16x32_fp8_fp8 v[12:15], a[86:87], a[14:15], v[12:15]// 000000003824: D3F3000C 1C321D56
	buffer_load_dword v49, s[20:23], 0 offen lds               // 00000000382C: E0511000 80050031
	s_add_u32 m0, 0x600, s48                                   // 000000003834: 807C30FF 00000600
	v_fma_f32 v88, v8, v4, v88                                 // 00000000383C: D1CB0058 05620908
	v_fma_f32 v89, v9, v4, v89                                 // 000000003844: D1CB0059 05660909
	v_fma_f32 v90, v10, v4, v90                                // 00000000384C: D1CB005A 056A090A
	v_fma_f32 v91, v11, v4, v91                                // 000000003854: D1CB005B 056E090B
	v_mul_f32_dpp v4, v24, v42 row_newbcast:1 row_mask:0xf bank_mask:0xf// 00000000385C: 0A0854FA FF015118
	v_mfma_f32_16x16x32_fp8_fp8 v[8:11], a[80:81], a[16:17], 0 // 000000003864: D3F30008 1A022150
	v_mfma_f32_16x16x32_fp8_fp8 v[8:11], a[82:83], a[18:19], v[8:11]// 00000000386C: D3F30008 1C222552
	buffer_load_dword v50, s[20:23], 0 offen lds               // 000000003874: E0511000 80050032
	s_add_u32 m0, 0x700, s48                                   // 00000000387C: 807C30FF 00000700
	v_mfma_f32_16x16x32_fp8_fp8 v[8:11], a[84:85], a[20:21], v[8:11]// 000000003884: D3F30008 1C222954
	v_mfma_f32_16x16x32_fp8_fp8 v[8:11], a[86:87], a[22:23], v[8:11]// 00000000388C: D3F30008 1C222D56
	buffer_load_dword v51, s[20:23], 0 offen lds               // 000000003894: E0511000 80050033
	s_add_u32 m0, 0, s49                                       // 00000000389C: 807C3180
	v_fma_f32 v92, v12, v6, v92                                // 0000000038A0: D1CB005C 05720D0C
	v_fma_f32 v93, v13, v6, v93                                // 0000000038A8: D1CB005D 05760D0D
	v_fma_f32 v94, v14, v6, v94                                // 0000000038B0: D1CB005E 057A0D0E
	v_fma_f32 v95, v15, v6, v95                                // 0000000038B8: D1CB005F 057E0D0F
	v_mul_f32_dpp v6, v24, v43 row_newbcast:1 row_mask:0xf bank_mask:0xf// 0000000038C0: 0A0C56FA FF015118
	v_mfma_f32_16x16x32_fp8_fp8 v[12:15], a[80:81], a[24:25], 0// 0000000038C8: D3F3000C 1A023150
	v_mfma_f32_16x16x32_fp8_fp8 v[12:15], a[82:83], a[26:27], v[12:15]// 0000000038D0: D3F3000C 1C323552
	buffer_load_dword v32, v28, s[28:31], 0 offen              // 0000000038D8: E0501000 8007201C
	v_mfma_f32_16x16x32_fp8_fp8 v[12:15], a[84:85], a[28:29], v[12:15]// 0000000038E0: D3F3000C 1C323954
	v_mfma_f32_16x16x32_fp8_fp8 v[12:15], a[86:87], a[30:31], v[12:15]// 0000000038E8: D3F3000C 1C323D56
	buffer_load_dword v33, v29, s[28:31], 0 offen              // 0000000038F0: E0501000 8007211D
	v_fma_f32 v96, v8, v4, v96                                 // 0000000038F8: D1CB0060 05820908
	v_fma_f32 v97, v9, v4, v97                                 // 000000003900: D1CB0061 05860909
	v_fma_f32 v98, v10, v4, v98                                // 000000003908: D1CB0062 058A090A
	v_fma_f32 v99, v11, v4, v99                                // 000000003910: D1CB0063 058E090B
	s_waitcnt vmcnt(19)                                        // 000000003918: BF8C4F73
	v_mul_f32_dpp v4, v24, v40 row_newbcast:1 row_mask:0xf bank_mask:0xf// 00000000391C: 0A0850FA FF015118
	v_mfma_f32_16x16x32_fp8_fp8 v[8:11], a[88:89], a[0:1], 0   // 000000003924: D3F30008 1A020158
	v_mfma_f32_16x16x32_fp8_fp8 v[8:11], a[90:91], a[2:3], v[8:11]// 00000000392C: D3F30008 1C22055A
	buffer_load_dword v34, v30, s[28:31], 0 offen              // 000000003934: E0501000 8007221E
	v_mfma_f32_16x16x32_fp8_fp8 v[8:11], a[92:93], a[4:5], v[8:11]// 00000000393C: D3F30008 1C22095C
	v_mfma_f32_16x16x32_fp8_fp8 v[8:11], a[94:95], a[6:7], v[8:11]// 000000003944: D3F30008 1C220D5E
	buffer_load_dword v35, v31, s[28:31], 0 offen              // 00000000394C: E0501000 8007231F
	v_fma_f32 v100, v12, v6, v100                              // 000000003954: D1CB0064 05920D0C
	v_fma_f32 v101, v13, v6, v101                              // 00000000395C: D1CB0065 05960D0D
	v_fma_f32 v102, v14, v6, v102                              // 000000003964: D1CB0066 059A0D0E
	v_fma_f32 v103, v15, v6, v103                              // 00000000396C: D1CB0067 059E0D0F
	v_mul_f32_dpp v6, v24, v41 row_newbcast:1 row_mask:0xf bank_mask:0xf// 000000003974: 0A0C52FA FF015118
	v_mfma_f32_16x16x32_fp8_fp8 v[12:15], a[88:89], a[8:9], 0  // 00000000397C: D3F3000C 1A021158
	v_mfma_f32_16x16x32_fp8_fp8 v[12:15], a[90:91], a[10:11], v[12:15]// 000000003984: D3F3000C 1C32155A
	v_mfma_f32_16x16x32_fp8_fp8 v[12:15], a[92:93], a[12:13], v[12:15]// 00000000398C: D3F3000C 1C32195C
	v_mfma_f32_16x16x32_fp8_fp8 v[12:15], a[94:95], a[14:15], v[12:15]// 000000003994: D3F3000C 1C321D5E
	v_fma_f32 v104, v8, v4, v104                               // 00000000399C: D1CB0068 05A20908
	v_fma_f32 v105, v9, v4, v105                               // 0000000039A4: D1CB0069 05A60909
	v_fma_f32 v106, v10, v4, v106                              // 0000000039AC: D1CB006A 05AA090A
	v_fma_f32 v107, v11, v4, v107                              // 0000000039B4: D1CB006B 05AE090B
	v_mul_f32_dpp v4, v24, v42 row_newbcast:1 row_mask:0xf bank_mask:0xf// 0000000039BC: 0A0854FA FF015118
	v_mfma_f32_16x16x32_fp8_fp8 v[8:11], a[88:89], a[16:17], 0 // 0000000039C4: D3F30008 1A022158
	v_mfma_f32_16x16x32_fp8_fp8 v[8:11], a[90:91], a[18:19], v[8:11]// 0000000039CC: D3F30008 1C22255A
	v_mfma_f32_16x16x32_fp8_fp8 v[8:11], a[92:93], a[20:21], v[8:11]// 0000000039D4: D3F30008 1C22295C
	v_mfma_f32_16x16x32_fp8_fp8 v[8:11], a[94:95], a[22:23], v[8:11]// 0000000039DC: D3F30008 1C222D5E
	v_fma_f32 v108, v12, v6, v108                              // 0000000039E4: D1CB006C 05B20D0C
	v_fma_f32 v109, v13, v6, v109                              // 0000000039EC: D1CB006D 05B60D0D
	v_fma_f32 v110, v14, v6, v110                              // 0000000039F4: D1CB006E 05BA0D0E
	v_fma_f32 v111, v15, v6, v111                              // 0000000039FC: D1CB006F 05BE0D0F
	v_mul_f32_dpp v6, v24, v43 row_newbcast:1 row_mask:0xf bank_mask:0xf// 000000003A04: 0A0C56FA FF015118
	v_mfma_f32_16x16x32_fp8_fp8 v[12:15], a[88:89], a[24:25], 0// 000000003A0C: D3F3000C 1A023158
	v_mfma_f32_16x16x32_fp8_fp8 v[12:15], a[90:91], a[26:27], v[12:15]// 000000003A14: D3F3000C 1C32355A
	s_add_u32 s60, 0x80, s80                                   // 000000003A1C: 803C50FF 00000080
	s_cmp_lt_u32 s60, s81                                      // 000000003A24: BF0A513C
	s_cselect_b32 s83, s83, 0                                  // 000000003A28: 85538053
	s_cselect_b32 s4, s4, 0                                    // 000000003A2C: 85048004
	v_mfma_f32_16x16x32_fp8_fp8 v[12:15], a[92:93], a[28:29], v[12:15]// 000000003A30: D3F3000C 1C32395C
	s_add_u32 s32, s4, s32                                     // 000000003A38: 80202004
	s_addc_u32 s33, 0, s33                                     // 000000003A3C: 82212180
	v_mfma_f32_16x16x32_fp8_fp8 v[12:15], a[94:95], a[30:31], v[12:15]// 000000003A40: D3F3000C 1C323D5E
	v_fma_f32 v112, v8, v4, v112                               // 000000003A48: D1CB0070 05C20908
	v_fma_f32 v113, v9, v4, v113                               // 000000003A50: D1CB0071 05C60909
	v_fma_f32 v114, v10, v4, v114                              // 000000003A58: D1CB0072 05CA090A
	v_fma_f32 v115, v11, v4, v115                              // 000000003A60: D1CB0073 05CE090B
	v_fma_f32 v116, v12, v6, v116                              // 000000003A68: D1CB0074 05D20D0C
	v_fma_f32 v117, v13, v6, v117                              // 000000003A70: D1CB0075 05D60D0D
	v_fma_f32 v118, v14, v6, v118                              // 000000003A78: D1CB0076 05DA0D0E
	v_fma_f32 v119, v15, v6, v119                              // 000000003A80: D1CB0077 05DE0D0F
	s_waitcnt vmcnt(12)                                        // 000000003A88: BF8C0F7C
	v_mul_f32_dpp v4, v27, v40 row_newbcast:0 row_mask:0xf bank_mask:0xf// 000000003A8C: 0A0850FA FF01501B
	v_mfma_f32_16x16x32_fp8_fp8 v[8:11], a[96:97], a[0:1], 0   // 000000003A94: D3F30008 1A020160
	buffer_load_dword v24, v22, s[32:35], 0 offen              // 000000003A9C: E0501000 80081816
	v_mfma_f32_16x16x32_fp8_fp8 v[8:11], a[98:99], a[2:3], v[8:11]// 000000003AA4: D3F30008 1C220562
	buffer_load_dwordx4 a[64:67], v52, s[24:27], 0 offen       // 000000003AAC: E05C1000 80864034
	v_mfma_f32_16x16x32_fp8_fp8 v[8:11], a[100:101], a[4:5], v[8:11]// 000000003AB4: D3F30008 1C220964
	v_mfma_f32_16x16x32_fp8_fp8 v[8:11], a[102:103], a[6:7], v[8:11]// 000000003ABC: D3F30008 1C220D66
	ds_read_b128 a[32:35], v2 offset:8320                      // 000000003AC4: DBFE2080 20000002
	ds_read_b128 a[36:39], v2 offset:8384                      // 000000003ACC: DBFE20C0 24000002
	v_mfma_f32_16x16x32_fp8_fp8 v[12:15], a[104:105], a[0:1], 0// 000000003AD4: D3F3000C 1A020168
	v_mfma_f32_16x16x32_fp8_fp8 v[12:15], a[106:107], a[2:3], v[12:15]// 000000003ADC: D3F3000C 1C32056A
	buffer_load_dwordx4 a[68:71], v52, s[24:27], 0 offen offset:1024// 000000003AE4: E05C1400 80864434
	v_mfma_f32_16x16x32_fp8_fp8 v[12:15], a[108:109], a[4:5], v[12:15]// 000000003AEC: D3F3000C 1C32096C
	v_mfma_f32_16x16x32_fp8_fp8 v[12:15], a[110:111], a[6:7], v[12:15]// 000000003AF4: D3F3000C 1C320D6E
	ds_read_b128 a[40:43], v2 offset:8832                      // 000000003AFC: DBFE2280 28000002
	ds_read_b128 a[44:47], v2 offset:8896                      // 000000003B04: DBFE22C0 2C000002
	v_fma_f32 v120, v8, v4, v120                               // 000000003B0C: D1CB0078 05E20908
	v_fma_f32 v121, v9, v4, v121                               // 000000003B14: D1CB0079 05E60909
	v_fma_f32 v122, v10, v4, v122                              // 000000003B1C: D1CB007A 05EA090A
	v_fma_f32 v123, v11, v4, v123                              // 000000003B24: D1CB007B 05EE090B
	v_mul_f32_dpp v6, v27, v40 row_newbcast:1 row_mask:0xf bank_mask:0xf// 000000003B2C: 0A0C50FA FF01511B
	v_mfma_f32_16x16x32_fp8_fp8 v[8:11], a[112:113], a[0:1], 0 // 000000003B34: D3F30008 1A020170
	v_mfma_f32_16x16x32_fp8_fp8 v[8:11], a[114:115], a[2:3], v[8:11]// 000000003B3C: D3F30008 1C220572
	buffer_load_dwordx4 a[72:75], v53, s[24:27], 0 offen       // 000000003B44: E05C1000 80864835
	v_mfma_f32_16x16x32_fp8_fp8 v[8:11], a[116:117], a[4:5], v[8:11]// 000000003B4C: D3F30008 1C220974
	v_mfma_f32_16x16x32_fp8_fp8 v[8:11], a[118:119], a[6:7], v[8:11]// 000000003B54: D3F30008 1C220D76
	ds_read_b128 a[48:51], v2 offset:9344                      // 000000003B5C: DBFE2480 30000002
	ds_read_b128 a[52:55], v2 offset:9408                      // 000000003B64: DBFE24C0 34000002
	v_fma_f32 v136, v12, v4, v136                              // 000000003B6C: D1CB0088 0622090C
	v_fma_f32 v137, v13, v4, v137                              // 000000003B74: D1CB0089 0626090D
	v_fma_f32 v138, v14, v4, v138                              // 000000003B7C: D1CB008A 062A090E
	v_fma_f32 v139, v15, v4, v139                              // 000000003B84: D1CB008B 062E090F
	v_mfma_f32_16x16x32_fp8_fp8 v[12:15], a[120:121], a[0:1], 0// 000000003B8C: D3F3000C 1A020178
	v_mfma_f32_16x16x32_fp8_fp8 v[12:15], a[122:123], a[2:3], v[12:15]// 000000003B94: D3F3000C 1C32057A
	buffer_load_dwordx4 a[76:79], v53, s[24:27], 0 offen offset:1024// 000000003B9C: E05C1400 80864C35
	v_mfma_f32_16x16x32_fp8_fp8 v[12:15], a[124:125], a[4:5], v[12:15]// 000000003BA4: D3F3000C 1C32097C
	v_mfma_f32_16x16x32_fp8_fp8 v[12:15], a[126:127], a[6:7], v[12:15]// 000000003BAC: D3F3000C 1C320D7E
	ds_read_b128 a[56:59], v2 offset:9856                      // 000000003BB4: DBFE2680 38000002
	ds_read_b128 a[60:63], v2 offset:9920                      // 000000003BBC: DBFE26C0 3C000002
	v_fma_f32 v152, v8, v6, v152                               // 000000003BC4: D1CB0098 06620D08
	v_fma_f32 v153, v9, v6, v153                               // 000000003BCC: D1CB0099 06660D09
	v_fma_f32 v154, v10, v6, v154                              // 000000003BD4: D1CB009A 066A0D0A
	v_fma_f32 v155, v11, v6, v155                              // 000000003BDC: D1CB009B 066E0D0B
	v_mul_f32_dpp v4, v27, v41 row_newbcast:0 row_mask:0xf bank_mask:0xf// 000000003BE4: 0A0852FA FF01501B
	v_mfma_f32_16x16x32_fp8_fp8 v[8:11], a[96:97], a[8:9], 0   // 000000003BEC: D3F30008 1A021160
	v_mfma_f32_16x16x32_fp8_fp8 v[8:11], a[98:99], a[10:11], v[8:11]// 000000003BF4: D3F30008 1C221562
	buffer_load_dwordx4 a[80:83], v54, s[24:27], 0 offen       // 000000003BFC: E05C1000 80865036
	v_mfma_f32_16x16x32_fp8_fp8 v[8:11], a[100:101], a[12:13], v[8:11]// 000000003C04: D3F30008 1C221964
	v_mfma_f32_16x16x32_fp8_fp8 v[8:11], a[102:103], a[14:15], v[8:11]// 000000003C0C: D3F30008 1C221D66
	v_fma_f32 v168, v12, v6, v168                              // 000000003C14: D1CB00A8 06A20D0C
	v_fma_f32 v169, v13, v6, v169                              // 000000003C1C: D1CB00A9 06A60D0D
	v_fma_f32 v170, v14, v6, v170                              // 000000003C24: D1CB00AA 06AA0D0E
	v_fma_f32 v171, v15, v6, v171                              // 000000003C2C: D1CB00AB 06AE0D0F
	v_mfma_f32_16x16x32_fp8_fp8 v[12:15], a[104:105], a[8:9], 0// 000000003C34: D3F3000C 1A021168
	v_mfma_f32_16x16x32_fp8_fp8 v[12:15], a[106:107], a[10:11], v[12:15]// 000000003C3C: D3F3000C 1C32156A
	buffer_load_dwordx4 a[84:87], v54, s[24:27], 0 offen offset:1024// 000000003C44: E05C1400 80865436
	v_mfma_f32_16x16x32_fp8_fp8 v[12:15], a[108:109], a[12:13], v[12:15]// 000000003C4C: D3F3000C 1C32196C
	v_mfma_f32_16x16x32_fp8_fp8 v[12:15], a[110:111], a[14:15], v[12:15]// 000000003C54: D3F3000C 1C321D6E
	v_fma_f32 v124, v8, v4, v124                               // 000000003C5C: D1CB007C 05F20908
	v_fma_f32 v125, v9, v4, v125                               // 000000003C64: D1CB007D 05F60909
	v_fma_f32 v126, v10, v4, v126                              // 000000003C6C: D1CB007E 05FA090A
	v_fma_f32 v127, v11, v4, v127                              // 000000003C74: D1CB007F 05FE090B
	v_mul_f32_dpp v6, v27, v41 row_newbcast:1 row_mask:0xf bank_mask:0xf// 000000003C7C: 0A0C52FA FF01511B
	v_mfma_f32_16x16x32_fp8_fp8 v[8:11], a[112:113], a[8:9], 0 // 000000003C84: D3F30008 1A021170
	v_mfma_f32_16x16x32_fp8_fp8 v[8:11], a[114:115], a[10:11], v[8:11]// 000000003C8C: D3F30008 1C221572
	buffer_load_dwordx4 a[88:91], v55, s[24:27], 0 offen       // 000000003C94: E05C1000 80865837
	v_mfma_f32_16x16x32_fp8_fp8 v[8:11], a[116:117], a[12:13], v[8:11]// 000000003C9C: D3F30008 1C221974
	v_mfma_f32_16x16x32_fp8_fp8 v[8:11], a[118:119], a[14:15], v[8:11]// 000000003CA4: D3F30008 1C221D76
	v_fma_f32 v140, v12, v4, v140                              // 000000003CAC: D1CB008C 0632090C
	v_fma_f32 v141, v13, v4, v141                              // 000000003CB4: D1CB008D 0636090D
	v_fma_f32 v142, v14, v4, v142                              // 000000003CBC: D1CB008E 063A090E
	v_fma_f32 v143, v15, v4, v143                              // 000000003CC4: D1CB008F 063E090F
	v_mfma_f32_16x16x32_fp8_fp8 v[12:15], a[120:121], a[8:9], 0// 000000003CCC: D3F3000C 1A021178
	v_mfma_f32_16x16x32_fp8_fp8 v[12:15], a[122:123], a[10:11], v[12:15]// 000000003CD4: D3F3000C 1C32157A
	buffer_load_dwordx4 a[92:95], v55, s[24:27], 0 offen offset:1024// 000000003CDC: E05C1400 80865C37
	v_mfma_f32_16x16x32_fp8_fp8 v[12:15], a[124:125], a[12:13], v[12:15]// 000000003CE4: D3F3000C 1C32197C
	v_mfma_f32_16x16x32_fp8_fp8 v[12:15], a[126:127], a[14:15], v[12:15]// 000000003CEC: D3F3000C 1C321D7E
	v_fma_f32 v156, v8, v6, v156                               // 000000003CF4: D1CB009C 06720D08
	v_fma_f32 v157, v9, v6, v157                               // 000000003CFC: D1CB009D 06760D09
	v_fma_f32 v158, v10, v6, v158                              // 000000003D04: D1CB009E 067A0D0A
	v_fma_f32 v159, v11, v6, v159                              // 000000003D0C: D1CB009F 067E0D0B
	v_mul_f32_dpp v4, v27, v42 row_newbcast:0 row_mask:0xf bank_mask:0xf// 000000003D14: 0A0854FA FF01501B
	v_mfma_f32_16x16x32_fp8_fp8 v[8:11], a[96:97], a[16:17], 0 // 000000003D1C: D3F30008 1A022160
	v_mfma_f32_16x16x32_fp8_fp8 v[8:11], a[98:99], a[18:19], v[8:11]// 000000003D24: D3F30008 1C222562
	v_mfma_f32_16x16x32_fp8_fp8 v[8:11], a[100:101], a[20:21], v[8:11]// 000000003D2C: D3F30008 1C222964
	v_mfma_f32_16x16x32_fp8_fp8 v[8:11], a[102:103], a[22:23], v[8:11]// 000000003D34: D3F30008 1C222D66
	v_fma_f32 v172, v12, v6, v172                              // 000000003D3C: D1CB00AC 06B20D0C
	v_fma_f32 v173, v13, v6, v173                              // 000000003D44: D1CB00AD 06B60D0D
	v_fma_f32 v174, v14, v6, v174                              // 000000003D4C: D1CB00AE 06BA0D0E
	v_fma_f32 v175, v15, v6, v175                              // 000000003D54: D1CB00AF 06BE0D0F
	v_mfma_f32_16x16x32_fp8_fp8 v[12:15], a[104:105], a[16:17], 0// 000000003D5C: D3F3000C 1A022168
	v_mfma_f32_16x16x32_fp8_fp8 v[12:15], a[106:107], a[18:19], v[12:15]// 000000003D64: D3F3000C 1C32256A
	v_mfma_f32_16x16x32_fp8_fp8 v[12:15], a[108:109], a[20:21], v[12:15]// 000000003D6C: D3F3000C 1C32296C
	v_mfma_f32_16x16x32_fp8_fp8 v[12:15], a[110:111], a[22:23], v[12:15]// 000000003D74: D3F3000C 1C322D6E
	v_fma_f32 v128, v8, v4, v128                               // 000000003D7C: D1CB0080 06020908
	v_fma_f32 v129, v9, v4, v129                               // 000000003D84: D1CB0081 06060909
	v_fma_f32 v130, v10, v4, v130                              // 000000003D8C: D1CB0082 060A090A
	v_fma_f32 v131, v11, v4, v131                              // 000000003D94: D1CB0083 060E090B
	v_mul_f32_dpp v6, v27, v42 row_newbcast:1 row_mask:0xf bank_mask:0xf// 000000003D9C: 0A0C54FA FF01511B
	v_mfma_f32_16x16x32_fp8_fp8 v[8:11], a[112:113], a[16:17], 0// 000000003DA4: D3F30008 1A022170
	v_mfma_f32_16x16x32_fp8_fp8 v[8:11], a[114:115], a[18:19], v[8:11]// 000000003DAC: D3F30008 1C222572
	v_mfma_f32_16x16x32_fp8_fp8 v[8:11], a[116:117], a[20:21], v[8:11]// 000000003DB4: D3F30008 1C222974
	v_mfma_f32_16x16x32_fp8_fp8 v[8:11], a[118:119], a[22:23], v[8:11]// 000000003DBC: D3F30008 1C222D76
	v_fma_f32 v144, v12, v4, v144                              // 000000003DC4: D1CB0090 0642090C
	v_fma_f32 v145, v13, v4, v145                              // 000000003DCC: D1CB0091 0646090D
	v_fma_f32 v146, v14, v4, v146                              // 000000003DD4: D1CB0092 064A090E
	v_fma_f32 v147, v15, v4, v147                              // 000000003DDC: D1CB0093 064E090F
	v_mfma_f32_16x16x32_fp8_fp8 v[12:15], a[120:121], a[16:17], 0// 000000003DE4: D3F3000C 1A022178
	v_mfma_f32_16x16x32_fp8_fp8 v[12:15], a[122:123], a[18:19], v[12:15]// 000000003DEC: D3F3000C 1C32257A
	v_mfma_f32_16x16x32_fp8_fp8 v[12:15], a[124:125], a[20:21], v[12:15]// 000000003DF4: D3F3000C 1C32297C
	v_mfma_f32_16x16x32_fp8_fp8 v[12:15], a[126:127], a[22:23], v[12:15]// 000000003DFC: D3F3000C 1C322D7E
	v_fma_f32 v160, v8, v6, v160                               // 000000003E04: D1CB00A0 06820D08
	v_fma_f32 v161, v9, v6, v161                               // 000000003E0C: D1CB00A1 06860D09
	v_fma_f32 v162, v10, v6, v162                              // 000000003E14: D1CB00A2 068A0D0A
	v_fma_f32 v163, v11, v6, v163                              // 000000003E1C: D1CB00A3 068E0D0B
	v_mul_f32_dpp v4, v27, v43 row_newbcast:0 row_mask:0xf bank_mask:0xf// 000000003E24: 0A0856FA FF01501B
	v_mfma_f32_16x16x32_fp8_fp8 v[8:11], a[96:97], a[24:25], 0 // 000000003E2C: D3F30008 1A023160
	v_mfma_f32_16x16x32_fp8_fp8 v[8:11], a[98:99], a[26:27], v[8:11]// 000000003E34: D3F30008 1C223562
	v_mfma_f32_16x16x32_fp8_fp8 v[8:11], a[100:101], a[28:29], v[8:11]// 000000003E3C: D3F30008 1C223964
	v_mfma_f32_16x16x32_fp8_fp8 v[8:11], a[102:103], a[30:31], v[8:11]// 000000003E44: D3F30008 1C223D66
	v_fma_f32 v176, v12, v6, v176                              // 000000003E4C: D1CB00B0 06C20D0C
	v_fma_f32 v177, v13, v6, v177                              // 000000003E54: D1CB00B1 06C60D0D
	v_fma_f32 v178, v14, v6, v178                              // 000000003E5C: D1CB00B2 06CA0D0E
	v_fma_f32 v179, v15, v6, v179                              // 000000003E64: D1CB00B3 06CE0D0F
	v_mfma_f32_16x16x32_fp8_fp8 v[12:15], a[104:105], a[24:25], 0// 000000003E6C: D3F3000C 1A023168
	v_mfma_f32_16x16x32_fp8_fp8 v[12:15], a[106:107], a[26:27], v[12:15]// 000000003E74: D3F3000C 1C32356A
	v_mfma_f32_16x16x32_fp8_fp8 v[12:15], a[108:109], a[28:29], v[12:15]// 000000003E7C: D3F3000C 1C32396C
	v_mfma_f32_16x16x32_fp8_fp8 v[12:15], a[110:111], a[30:31], v[12:15]// 000000003E84: D3F3000C 1C323D6E
	v_fma_f32 v132, v8, v4, v132                               // 000000003E8C: D1CB0084 06120908
	v_fma_f32 v133, v9, v4, v133                               // 000000003E94: D1CB0085 06160909
	v_fma_f32 v134, v10, v4, v134                              // 000000003E9C: D1CB0086 061A090A
	v_fma_f32 v135, v11, v4, v135                              // 000000003EA4: D1CB0087 061E090B
	v_mul_f32_dpp v6, v27, v43 row_newbcast:1 row_mask:0xf bank_mask:0xf// 000000003EAC: 0A0C56FA FF01511B
	v_mfma_f32_16x16x32_fp8_fp8 v[8:11], a[112:113], a[24:25], 0// 000000003EB4: D3F30008 1A023170
	v_mfma_f32_16x16x32_fp8_fp8 v[8:11], a[114:115], a[26:27], v[8:11]// 000000003EBC: D3F30008 1C223572
	v_mfma_f32_16x16x32_fp8_fp8 v[8:11], a[116:117], a[28:29], v[8:11]// 000000003EC4: D3F30008 1C223974
	s_add_u32 s60, 0x180, s80                                  // 000000003ECC: 803C50FF 00000180
	s_cmp_lt_u32 s60, s81                                      // 000000003ED4: BF0A513C
	s_cselect_b32 s57, s57, 0                                  // 000000003ED8: 85398039
	s_cselect_b32 s3, s3, 0                                    // 000000003EDC: 85038003
	v_mfma_f32_16x16x32_fp8_fp8 v[8:11], a[118:119], a[30:31], v[8:11]// 000000003EE0: D3F30008 1C223D76
	s_add_u32 s60, 0x100, s80                                  // 000000003EE8: 803C50FF 00000100
	s_cmp_lt_u32 s60, s81                                      // 000000003EF0: BF0A513C
	s_cselect_b32 s58, s58, 0                                  // 000000003EF4: 853A803A
	v_fma_f32 v148, v12, v4, v148                              // 000000003EF8: D1CB0094 0652090C
	v_fma_f32 v149, v13, v4, v149                              // 000000003F00: D1CB0095 0656090D
	v_fma_f32 v150, v14, v4, v150                              // 000000003F08: D1CB0096 065A090E
	v_fma_f32 v151, v15, v4, v151                              // 000000003F10: D1CB0097 065E090F
	v_mfma_f32_16x16x32_fp8_fp8 v[12:15], a[120:121], a[24:25], 0// 000000003F18: D3F3000C 1A023178
	s_add_u32 s24, s58, s24                                    // 000000003F20: 8018183A
	s_addc_u32 s25, 0, s25                                     // 000000003F24: 82191980
	v_mfma_f32_16x16x32_fp8_fp8 v[12:15], a[122:123], a[26:27], v[12:15]// 000000003F28: D3F3000C 1C32357A
	s_add_u32 s20, s57, s20                                    // 000000003F30: 80141439
	s_addc_u32 s21, 0, s21                                     // 000000003F34: 82151580
	s_add_u32 s28, s3, s28                                     // 000000003F38: 801C1C03
	s_addc_u32 s29, 0, s29                                     // 000000003F3C: 821D1D80
	v_mfma_f32_16x16x32_fp8_fp8 v[12:15], a[124:125], a[28:29], v[12:15]// 000000003F40: D3F3000C 1C32397C
	s_add_u32 s84, s83, s84                                    // 000000003F48: 80545453
	s_addc_u32 s85, 0, s85                                     // 000000003F4C: 82555580
	v_mfma_f32_16x16x32_fp8_fp8 v[12:15], a[126:127], a[30:31], v[12:15]// 000000003F50: D3F3000C 1C323D7E
	v_fma_f32 v164, v8, v6, v164                               // 000000003F58: D1CB00A4 06920D08
	v_fma_f32 v165, v9, v6, v165                               // 000000003F60: D1CB00A5 06960D09
	v_fma_f32 v166, v10, v6, v166                              // 000000003F68: D1CB00A6 069A0D0A
	v_fma_f32 v167, v11, v6, v167                              // 000000003F70: D1CB00A7 069E0D0B
	v_fma_f32 v180, v12, v6, v180                              // 000000003F78: D1CB00B4 06D20D0C
	v_fma_f32 v181, v13, v6, v181                              // 000000003F80: D1CB00B5 06D60D0D
	v_fma_f32 v182, v14, v6, v182                              // 000000003F88: D1CB00B6 06DA0D0E
	v_fma_f32 v183, v15, v6, v183                              // 000000003F90: D1CB00B7 06DE0D0F
	s_addk_i32 s80, 0x80                                       // 000000003F98: B7500080
	s_cmp_lt_i32 s80, s81                                      // 000000003F9C: BF045150
	s_cbranch_scc0 label_081A                                  // 000000003FA0: BF8402B1
	s_waitcnt vmcnt(6) lgkmcnt(0)                              // 000000003FA4: BF8C0076
	s_barrier                                                  // 000000003FA8: BF8A0000
	v_mov_b32_e32 v40, v36                                     // 000000003FAC: 7E500324
	v_mov_b32_e32 v41, v37                                     // 000000003FB0: 7E520325
	v_mov_b32_e32 v42, v38                                     // 000000003FB4: 7E540326
	v_mov_b32_e32 v43, v39                                     // 000000003FB8: 7E560327
	v_mul_f32_dpp v4, v24, v40 row_newbcast:0 row_mask:0xf bank_mask:0xf// 000000003FBC: 0A0850FA FF015018
	v_mfma_f32_16x16x32_fp8_fp8 v[8:11], a[64:65], a[32:33], 0 // 000000003FC4: D3F30008 1A024140
	buffer_load_dword v27, v23, s[32:35], 0 offen              // 000000003FCC: E0501000 80081B17
	v_mfma_f32_16x16x32_fp8_fp8 v[8:11], a[66:67], a[34:35], v[8:11]// 000000003FD4: D3F30008 1C224542
	buffer_load_dwordx4 a[96:99], v52, s[84:87], 0 offen       // 000000003FDC: E05C1000 80956034
	v_mfma_f32_16x16x32_fp8_fp8 v[8:11], a[68:69], a[36:37], v[8:11]// 000000003FE4: D3F30008 1C224944
	v_mfma_f32_16x16x32_fp8_fp8 v[8:11], a[70:71], a[38:39], v[8:11]// 000000003FEC: D3F30008 1C224D46
	v_mul_f32_dpp v6, v24, v41 row_newbcast:0 row_mask:0xf bank_mask:0xf// 000000003FF4: 0A0C52FA FF015018
	v_mfma_f32_16x16x32_fp8_fp8 v[12:15], a[64:65], a[40:41], 0// 000000003FFC: D3F3000C 1A025140
	v_mfma_f32_16x16x32_fp8_fp8 v[12:15], a[66:67], a[42:43], v[12:15]// 000000004004: D3F3000C 1C325542
	buffer_load_dwordx4 a[100:103], v52, s[84:87], 0 offen offset:1024// 00000000400C: E05C1400 80956434
	v_mfma_f32_16x16x32_fp8_fp8 v[12:15], a[68:69], a[44:45], v[12:15]// 000000004014: D3F3000C 1C325944
	v_mfma_f32_16x16x32_fp8_fp8 v[12:15], a[70:71], a[46:47], v[12:15]// 00000000401C: D3F3000C 1C325D46
	v_fma_f32 v56, v8, v4, v56                                 // 000000004024: D1CB0038 04E20908
	v_fma_f32 v57, v9, v4, v57                                 // 00000000402C: D1CB0039 04E60909
	v_fma_f32 v58, v10, v4, v58                                // 000000004034: D1CB003A 04EA090A
	v_fma_f32 v59, v11, v4, v59                                // 00000000403C: D1CB003B 04EE090B
	v_mul_f32_dpp v4, v24, v42 row_newbcast:0 row_mask:0xf bank_mask:0xf// 000000004044: 0A0854FA FF015018
	v_mfma_f32_16x16x32_fp8_fp8 v[8:11], a[64:65], a[48:49], 0 // 00000000404C: D3F30008 1A026140
	v_mfma_f32_16x16x32_fp8_fp8 v[8:11], a[66:67], a[50:51], v[8:11]// 000000004054: D3F30008 1C226542
	buffer_load_dwordx4 a[104:107], v53, s[84:87], 0 offen     // 00000000405C: E05C1000 80956835
	v_mfma_f32_16x16x32_fp8_fp8 v[8:11], a[68:69], a[52:53], v[8:11]// 000000004064: D3F30008 1C226944
	v_mfma_f32_16x16x32_fp8_fp8 v[8:11], a[70:71], a[54:55], v[8:11]// 00000000406C: D3F30008 1C226D46
	v_fma_f32 v60, v12, v6, v60                                // 000000004074: D1CB003C 04F20D0C
	v_fma_f32 v61, v13, v6, v61                                // 00000000407C: D1CB003D 04F60D0D
	v_fma_f32 v62, v14, v6, v62                                // 000000004084: D1CB003E 04FA0D0E
	v_fma_f32 v63, v15, v6, v63                                // 00000000408C: D1CB003F 04FE0D0F
	v_mul_f32_dpp v6, v24, v43 row_newbcast:0 row_mask:0xf bank_mask:0xf// 000000004094: 0A0C56FA FF015018
	v_mfma_f32_16x16x32_fp8_fp8 v[12:15], a[64:65], a[56:57], 0// 00000000409C: D3F3000C 1A027140
	v_mfma_f32_16x16x32_fp8_fp8 v[12:15], a[66:67], a[58:59], v[12:15]// 0000000040A4: D3F3000C 1C327542
	buffer_load_dwordx4 a[108:111], v53, s[84:87], 0 offen offset:1024// 0000000040AC: E05C1400 80956C35
	v_mfma_f32_16x16x32_fp8_fp8 v[12:15], a[68:69], a[60:61], v[12:15]// 0000000040B4: D3F3000C 1C327944
	v_mfma_f32_16x16x32_fp8_fp8 v[12:15], a[70:71], a[62:63], v[12:15]// 0000000040BC: D3F3000C 1C327D46
	v_fma_f32 v64, v8, v4, v64                                 // 0000000040C4: D1CB0040 05020908
	v_fma_f32 v65, v9, v4, v65                                 // 0000000040CC: D1CB0041 05060909
	v_fma_f32 v66, v10, v4, v66                                // 0000000040D4: D1CB0042 050A090A
	v_fma_f32 v67, v11, v4, v67                                // 0000000040DC: D1CB0043 050E090B
	s_waitcnt vmcnt(9)                                         // 0000000040E4: BF8C0F79
	v_mul_f32_dpp v4, v24, v40 row_newbcast:0 row_mask:0xf bank_mask:0xf// 0000000040E8: 0A0850FA FF015018
	v_mfma_f32_16x16x32_fp8_fp8 v[8:11], a[72:73], a[32:33], 0 // 0000000040F0: D3F30008 1A024148
	v_mfma_f32_16x16x32_fp8_fp8 v[8:11], a[74:75], a[34:35], v[8:11]// 0000000040F8: D3F30008 1C22454A
	buffer_load_dwordx4 a[112:115], v54, s[84:87], 0 offen     // 000000004100: E05C1000 80957036
	v_mfma_f32_16x16x32_fp8_fp8 v[8:11], a[76:77], a[36:37], v[8:11]// 000000004108: D3F30008 1C22494C
	v_mfma_f32_16x16x32_fp8_fp8 v[8:11], a[78:79], a[38:39], v[8:11]// 000000004110: D3F30008 1C224D4E
	v_fma_f32 v68, v12, v6, v68                                // 000000004118: D1CB0044 05120D0C
	v_fma_f32 v69, v13, v6, v69                                // 000000004120: D1CB0045 05160D0D
	v_fma_f32 v70, v14, v6, v70                                // 000000004128: D1CB0046 051A0D0E
	v_fma_f32 v71, v15, v6, v71                                // 000000004130: D1CB0047 051E0D0F
	v_mul_f32_dpp v6, v24, v41 row_newbcast:0 row_mask:0xf bank_mask:0xf// 000000004138: 0A0C52FA FF015018
	v_mfma_f32_16x16x32_fp8_fp8 v[12:15], a[72:73], a[40:41], 0// 000000004140: D3F3000C 1A025148
	v_mfma_f32_16x16x32_fp8_fp8 v[12:15], a[74:75], a[42:43], v[12:15]// 000000004148: D3F3000C 1C32554A
	buffer_load_dwordx4 a[116:119], v54, s[84:87], 0 offen offset:1024// 000000004150: E05C1400 80957436
	v_mfma_f32_16x16x32_fp8_fp8 v[12:15], a[76:77], a[44:45], v[12:15]// 000000004158: D3F3000C 1C32594C
	v_mfma_f32_16x16x32_fp8_fp8 v[12:15], a[78:79], a[46:47], v[12:15]// 000000004160: D3F3000C 1C325D4E
	v_fma_f32 v72, v8, v4, v72                                 // 000000004168: D1CB0048 05220908
	v_fma_f32 v73, v9, v4, v73                                 // 000000004170: D1CB0049 05260909
	v_fma_f32 v74, v10, v4, v74                                // 000000004178: D1CB004A 052A090A
	v_fma_f32 v75, v11, v4, v75                                // 000000004180: D1CB004B 052E090B
	v_mul_f32_dpp v4, v24, v42 row_newbcast:0 row_mask:0xf bank_mask:0xf// 000000004188: 0A0854FA FF015018
	v_mfma_f32_16x16x32_fp8_fp8 v[8:11], a[72:73], a[48:49], 0 // 000000004190: D3F30008 1A026148
	v_mfma_f32_16x16x32_fp8_fp8 v[8:11], a[74:75], a[50:51], v[8:11]// 000000004198: D3F30008 1C22654A
	buffer_load_dwordx4 a[120:123], v55, s[84:87], 0 offen     // 0000000041A0: E05C1000 80957837
	v_mfma_f32_16x16x32_fp8_fp8 v[8:11], a[76:77], a[52:53], v[8:11]// 0000000041A8: D3F30008 1C22694C
	v_mfma_f32_16x16x32_fp8_fp8 v[8:11], a[78:79], a[54:55], v[8:11]// 0000000041B0: D3F30008 1C226D4E
	v_fma_f32 v76, v12, v6, v76                                // 0000000041B8: D1CB004C 05320D0C
	v_fma_f32 v77, v13, v6, v77                                // 0000000041C0: D1CB004D 05360D0D
	v_fma_f32 v78, v14, v6, v78                                // 0000000041C8: D1CB004E 053A0D0E
	v_fma_f32 v79, v15, v6, v79                                // 0000000041D0: D1CB004F 053E0D0F
	v_mul_f32_dpp v6, v24, v43 row_newbcast:0 row_mask:0xf bank_mask:0xf// 0000000041D8: 0A0C56FA FF015018
	v_mfma_f32_16x16x32_fp8_fp8 v[12:15], a[72:73], a[56:57], 0// 0000000041E0: D3F3000C 1A027148
	v_mfma_f32_16x16x32_fp8_fp8 v[12:15], a[74:75], a[58:59], v[12:15]// 0000000041E8: D3F3000C 1C32754A
	buffer_load_dwordx4 a[124:127], v55, s[84:87], 0 offen offset:1024// 0000000041F0: E05C1400 80957C37
	buffer_load_dword v44, s[20:23], 0 offen lds               // 0000000041F8: E0511000 8005002C
	s_add_u32 m0, 0x100, s49                                   // 000000004200: 807C31FF 00000100
	v_mfma_f32_16x16x32_fp8_fp8 v[12:15], a[76:77], a[60:61], v[12:15]// 000000004208: D3F3000C 1C32794C
	v_mfma_f32_16x16x32_fp8_fp8 v[12:15], a[78:79], a[62:63], v[12:15]// 000000004210: D3F3000C 1C327D4E
	buffer_load_dword v45, s[20:23], 0 offen lds               // 000000004218: E0511000 8005002D
	s_add_u32 m0, 0x200, s49                                   // 000000004220: 807C31FF 00000200
	v_fma_f32 v80, v8, v4, v80                                 // 000000004228: D1CB0050 05420908
	v_fma_f32 v81, v9, v4, v81                                 // 000000004230: D1CB0051 05460909
	v_fma_f32 v82, v10, v4, v82                                // 000000004238: D1CB0052 054A090A
	v_fma_f32 v83, v11, v4, v83                                // 000000004240: D1CB0053 054E090B
	s_waitcnt vmcnt(13)                                        // 000000004248: BF8C0F7D
	v_mul_f32_dpp v4, v24, v40 row_newbcast:1 row_mask:0xf bank_mask:0xf// 00000000424C: 0A0850FA FF015118
	v_mfma_f32_16x16x32_fp8_fp8 v[8:11], a[80:81], a[32:33], 0 // 000000004254: D3F30008 1A024150
	v_mfma_f32_16x16x32_fp8_fp8 v[8:11], a[82:83], a[34:35], v[8:11]// 00000000425C: D3F30008 1C224552
	buffer_load_dword v46, s[20:23], 0 offen lds               // 000000004264: E0511000 8005002E
	s_add_u32 m0, 0x300, s49                                   // 00000000426C: 807C31FF 00000300
	v_mfma_f32_16x16x32_fp8_fp8 v[8:11], a[84:85], a[36:37], v[8:11]// 000000004274: D3F30008 1C224954
	v_mfma_f32_16x16x32_fp8_fp8 v[8:11], a[86:87], a[38:39], v[8:11]// 00000000427C: D3F30008 1C224D56
	buffer_load_dword v47, s[20:23], 0 offen lds               // 000000004284: E0511000 8005002F
	s_add_u32 m0, 0x400, s49                                   // 00000000428C: 807C31FF 00000400
	v_fma_f32 v84, v12, v6, v84                                // 000000004294: D1CB0054 05520D0C
	v_fma_f32 v85, v13, v6, v85                                // 00000000429C: D1CB0055 05560D0D
	v_fma_f32 v86, v14, v6, v86                                // 0000000042A4: D1CB0056 055A0D0E
	v_fma_f32 v87, v15, v6, v87                                // 0000000042AC: D1CB0057 055E0D0F
	v_mul_f32_dpp v6, v24, v41 row_newbcast:1 row_mask:0xf bank_mask:0xf// 0000000042B4: 0A0C52FA FF015118
	v_mfma_f32_16x16x32_fp8_fp8 v[12:15], a[80:81], a[40:41], 0// 0000000042BC: D3F3000C 1A025150
	v_mfma_f32_16x16x32_fp8_fp8 v[12:15], a[82:83], a[42:43], v[12:15]// 0000000042C4: D3F3000C 1C325552
	buffer_load_dword v48, s[20:23], 0 offen lds               // 0000000042CC: E0511000 80050030
	s_add_u32 m0, 0x500, s49                                   // 0000000042D4: 807C31FF 00000500
	v_mfma_f32_16x16x32_fp8_fp8 v[12:15], a[84:85], a[44:45], v[12:15]// 0000000042DC: D3F3000C 1C325954
	v_mfma_f32_16x16x32_fp8_fp8 v[12:15], a[86:87], a[46:47], v[12:15]// 0000000042E4: D3F3000C 1C325D56
	buffer_load_dword v49, s[20:23], 0 offen lds               // 0000000042EC: E0511000 80050031
	s_add_u32 m0, 0x600, s49                                   // 0000000042F4: 807C31FF 00000600
	v_fma_f32 v88, v8, v4, v88                                 // 0000000042FC: D1CB0058 05620908
	v_fma_f32 v89, v9, v4, v89                                 // 000000004304: D1CB0059 05660909
	v_fma_f32 v90, v10, v4, v90                                // 00000000430C: D1CB005A 056A090A
	v_fma_f32 v91, v11, v4, v91                                // 000000004314: D1CB005B 056E090B
	v_mul_f32_dpp v4, v24, v42 row_newbcast:1 row_mask:0xf bank_mask:0xf// 00000000431C: 0A0854FA FF015118
	v_mfma_f32_16x16x32_fp8_fp8 v[8:11], a[80:81], a[48:49], 0 // 000000004324: D3F30008 1A026150
	v_mfma_f32_16x16x32_fp8_fp8 v[8:11], a[82:83], a[50:51], v[8:11]// 00000000432C: D3F30008 1C226552
	buffer_load_dword v50, s[20:23], 0 offen lds               // 000000004334: E0511000 80050032
	s_add_u32 m0, 0x700, s49                                   // 00000000433C: 807C31FF 00000700
	v_mfma_f32_16x16x32_fp8_fp8 v[8:11], a[84:85], a[52:53], v[8:11]// 000000004344: D3F30008 1C226954
	v_mfma_f32_16x16x32_fp8_fp8 v[8:11], a[86:87], a[54:55], v[8:11]// 00000000434C: D3F30008 1C226D56
	buffer_load_dword v51, s[20:23], 0 offen lds               // 000000004354: E0511000 80050033
	s_add_u32 m0, 0, s48                                       // 00000000435C: 807C3080
	v_fma_f32 v92, v12, v6, v92                                // 000000004360: D1CB005C 05720D0C
	v_fma_f32 v93, v13, v6, v93                                // 000000004368: D1CB005D 05760D0D
	v_fma_f32 v94, v14, v6, v94                                // 000000004370: D1CB005E 057A0D0E
	v_fma_f32 v95, v15, v6, v95                                // 000000004378: D1CB005F 057E0D0F
	v_mul_f32_dpp v6, v24, v43 row_newbcast:1 row_mask:0xf bank_mask:0xf// 000000004380: 0A0C56FA FF015118
	v_mfma_f32_16x16x32_fp8_fp8 v[12:15], a[80:81], a[56:57], 0// 000000004388: D3F3000C 1A027150
	v_mfma_f32_16x16x32_fp8_fp8 v[12:15], a[82:83], a[58:59], v[12:15]// 000000004390: D3F3000C 1C327552
	buffer_load_dword v36, v28, s[28:31], 0 offen              // 000000004398: E0501000 8007241C
	v_mfma_f32_16x16x32_fp8_fp8 v[12:15], a[84:85], a[60:61], v[12:15]// 0000000043A0: D3F3000C 1C327954
	v_mfma_f32_16x16x32_fp8_fp8 v[12:15], a[86:87], a[62:63], v[12:15]// 0000000043A8: D3F3000C 1C327D56
	buffer_load_dword v37, v29, s[28:31], 0 offen              // 0000000043B0: E0501000 8007251D
	v_fma_f32 v96, v8, v4, v96                                 // 0000000043B8: D1CB0060 05820908
	v_fma_f32 v97, v9, v4, v97                                 // 0000000043C0: D1CB0061 05860909
	v_fma_f32 v98, v10, v4, v98                                // 0000000043C8: D1CB0062 058A090A
	v_fma_f32 v99, v11, v4, v99                                // 0000000043D0: D1CB0063 058E090B
	s_waitcnt vmcnt(19)                                        // 0000000043D8: BF8C4F73
	v_mul_f32_dpp v4, v24, v40 row_newbcast:1 row_mask:0xf bank_mask:0xf// 0000000043DC: 0A0850FA FF015118
	v_mfma_f32_16x16x32_fp8_fp8 v[8:11], a[88:89], a[32:33], 0 // 0000000043E4: D3F30008 1A024158
	v_mfma_f32_16x16x32_fp8_fp8 v[8:11], a[90:91], a[34:35], v[8:11]// 0000000043EC: D3F30008 1C22455A
	buffer_load_dword v38, v30, s[28:31], 0 offen              // 0000000043F4: E0501000 8007261E
	v_mfma_f32_16x16x32_fp8_fp8 v[8:11], a[92:93], a[36:37], v[8:11]// 0000000043FC: D3F30008 1C22495C
	v_mfma_f32_16x16x32_fp8_fp8 v[8:11], a[94:95], a[38:39], v[8:11]// 000000004404: D3F30008 1C224D5E
	buffer_load_dword v39, v31, s[28:31], 0 offen              // 00000000440C: E0501000 8007271F
	v_fma_f32 v100, v12, v6, v100                              // 000000004414: D1CB0064 05920D0C
	v_fma_f32 v101, v13, v6, v101                              // 00000000441C: D1CB0065 05960D0D
	v_fma_f32 v102, v14, v6, v102                              // 000000004424: D1CB0066 059A0D0E
	v_fma_f32 v103, v15, v6, v103                              // 00000000442C: D1CB0067 059E0D0F
	v_mul_f32_dpp v6, v24, v41 row_newbcast:1 row_mask:0xf bank_mask:0xf// 000000004434: 0A0C52FA FF015118
	v_mfma_f32_16x16x32_fp8_fp8 v[12:15], a[88:89], a[40:41], 0// 00000000443C: D3F3000C 1A025158
	v_mfma_f32_16x16x32_fp8_fp8 v[12:15], a[90:91], a[42:43], v[12:15]// 000000004444: D3F3000C 1C32555A
	v_mfma_f32_16x16x32_fp8_fp8 v[12:15], a[92:93], a[44:45], v[12:15]// 00000000444C: D3F3000C 1C32595C
	v_mfma_f32_16x16x32_fp8_fp8 v[12:15], a[94:95], a[46:47], v[12:15]// 000000004454: D3F3000C 1C325D5E
	v_fma_f32 v104, v8, v4, v104                               // 00000000445C: D1CB0068 05A20908
	v_fma_f32 v105, v9, v4, v105                               // 000000004464: D1CB0069 05A60909
	v_fma_f32 v106, v10, v4, v106                              // 00000000446C: D1CB006A 05AA090A
	v_fma_f32 v107, v11, v4, v107                              // 000000004474: D1CB006B 05AE090B
	v_mul_f32_dpp v4, v24, v42 row_newbcast:1 row_mask:0xf bank_mask:0xf// 00000000447C: 0A0854FA FF015118
	v_mfma_f32_16x16x32_fp8_fp8 v[8:11], a[88:89], a[48:49], 0 // 000000004484: D3F30008 1A026158
	v_mfma_f32_16x16x32_fp8_fp8 v[8:11], a[90:91], a[50:51], v[8:11]// 00000000448C: D3F30008 1C22655A
	v_mfma_f32_16x16x32_fp8_fp8 v[8:11], a[92:93], a[52:53], v[8:11]// 000000004494: D3F30008 1C22695C
	v_mfma_f32_16x16x32_fp8_fp8 v[8:11], a[94:95], a[54:55], v[8:11]// 00000000449C: D3F30008 1C226D5E
	v_fma_f32 v108, v12, v6, v108                              // 0000000044A4: D1CB006C 05B20D0C
	v_fma_f32 v109, v13, v6, v109                              // 0000000044AC: D1CB006D 05B60D0D
	v_fma_f32 v110, v14, v6, v110                              // 0000000044B4: D1CB006E 05BA0D0E
	v_fma_f32 v111, v15, v6, v111                              // 0000000044BC: D1CB006F 05BE0D0F
	v_mul_f32_dpp v6, v24, v43 row_newbcast:1 row_mask:0xf bank_mask:0xf// 0000000044C4: 0A0C56FA FF015118
	v_mfma_f32_16x16x32_fp8_fp8 v[12:15], a[88:89], a[56:57], 0// 0000000044CC: D3F3000C 1A027158
	v_mfma_f32_16x16x32_fp8_fp8 v[12:15], a[90:91], a[58:59], v[12:15]// 0000000044D4: D3F3000C 1C32755A
	s_add_u32 s60, 0x80, s80                                   // 0000000044DC: 803C50FF 00000080
	s_cmp_lt_u32 s60, s81                                      // 0000000044E4: BF0A513C
	s_cselect_b32 s83, s83, 0                                  // 0000000044E8: 85538053
	s_cselect_b32 s4, s4, 0                                    // 0000000044EC: 85048004
	v_mfma_f32_16x16x32_fp8_fp8 v[12:15], a[92:93], a[60:61], v[12:15]// 0000000044F0: D3F3000C 1C32795C
	s_add_u32 s32, s4, s32                                     // 0000000044F8: 80202004
	s_addc_u32 s33, 0, s33                                     // 0000000044FC: 82212180
	v_mfma_f32_16x16x32_fp8_fp8 v[12:15], a[94:95], a[62:63], v[12:15]// 000000004500: D3F3000C 1C327D5E
	v_fma_f32 v112, v8, v4, v112                               // 000000004508: D1CB0070 05C20908
	v_fma_f32 v113, v9, v4, v113                               // 000000004510: D1CB0071 05C60909
	v_fma_f32 v114, v10, v4, v114                              // 000000004518: D1CB0072 05CA090A
	v_fma_f32 v115, v11, v4, v115                              // 000000004520: D1CB0073 05CE090B
	v_fma_f32 v116, v12, v6, v116                              // 000000004528: D1CB0074 05D20D0C
	v_fma_f32 v117, v13, v6, v117                              // 000000004530: D1CB0075 05D60D0D
	v_fma_f32 v118, v14, v6, v118                              // 000000004538: D1CB0076 05DA0D0E
	v_fma_f32 v119, v15, v6, v119                              // 000000004540: D1CB0077 05DE0D0F
	s_waitcnt vmcnt(12)                                        // 000000004548: BF8C0F7C
	v_mul_f32_dpp v4, v27, v40 row_newbcast:0 row_mask:0xf bank_mask:0xf// 00000000454C: 0A0850FA FF01501B
	v_mfma_f32_16x16x32_fp8_fp8 v[8:11], a[96:97], a[32:33], 0 // 000000004554: D3F30008 1A024160
	buffer_load_dword v24, v22, s[32:35], 0 offen              // 00000000455C: E0501000 80081816
	v_mfma_f32_16x16x32_fp8_fp8 v[8:11], a[98:99], a[34:35], v[8:11]// 000000004564: D3F30008 1C224562
	buffer_load_dwordx4 a[64:67], v52, s[24:27], 0 offen       // 00000000456C: E05C1000 80864034
	v_mfma_f32_16x16x32_fp8_fp8 v[8:11], a[100:101], a[36:37], v[8:11]// 000000004574: D3F30008 1C224964
	v_mfma_f32_16x16x32_fp8_fp8 v[8:11], a[102:103], a[38:39], v[8:11]// 00000000457C: D3F30008 1C224D66
	ds_read_b128 a[0:3], v2                                    // 000000004584: DBFE0000 00000002
	ds_read_b128 a[4:7], v2 offset:64                          // 00000000458C: DBFE0040 04000002
	v_mfma_f32_16x16x32_fp8_fp8 v[12:15], a[104:105], a[32:33], 0// 000000004594: D3F3000C 1A024168
	v_mfma_f32_16x16x32_fp8_fp8 v[12:15], a[106:107], a[34:35], v[12:15]// 00000000459C: D3F3000C 1C32456A
	buffer_load_dwordx4 a[68:71], v52, s[24:27], 0 offen offset:1024// 0000000045A4: E05C1400 80864434
	v_mfma_f32_16x16x32_fp8_fp8 v[12:15], a[108:109], a[36:37], v[12:15]// 0000000045AC: D3F3000C 1C32496C
	v_mfma_f32_16x16x32_fp8_fp8 v[12:15], a[110:111], a[38:39], v[12:15]// 0000000045B4: D3F3000C 1C324D6E
	ds_read_b128 a[8:11], v2 offset:512                        // 0000000045BC: DBFE0200 08000002
	ds_read_b128 a[12:15], v2 offset:576                       // 0000000045C4: DBFE0240 0C000002
	v_fma_f32 v120, v8, v4, v120                               // 0000000045CC: D1CB0078 05E20908
	v_fma_f32 v121, v9, v4, v121                               // 0000000045D4: D1CB0079 05E60909
	v_fma_f32 v122, v10, v4, v122                              // 0000000045DC: D1CB007A 05EA090A
	v_fma_f32 v123, v11, v4, v123                              // 0000000045E4: D1CB007B 05EE090B
	v_mul_f32_dpp v6, v27, v40 row_newbcast:1 row_mask:0xf bank_mask:0xf// 0000000045EC: 0A0C50FA FF01511B
	v_mfma_f32_16x16x32_fp8_fp8 v[8:11], a[112:113], a[32:33], 0// 0000000045F4: D3F30008 1A024170
	v_mfma_f32_16x16x32_fp8_fp8 v[8:11], a[114:115], a[34:35], v[8:11]// 0000000045FC: D3F30008 1C224572
	buffer_load_dwordx4 a[72:75], v53, s[24:27], 0 offen       // 000000004604: E05C1000 80864835
	v_mfma_f32_16x16x32_fp8_fp8 v[8:11], a[116:117], a[36:37], v[8:11]// 00000000460C: D3F30008 1C224974
	v_mfma_f32_16x16x32_fp8_fp8 v[8:11], a[118:119], a[38:39], v[8:11]// 000000004614: D3F30008 1C224D76
	ds_read_b128 a[16:19], v2 offset:1024                      // 00000000461C: DBFE0400 10000002
	ds_read_b128 a[20:23], v2 offset:1088                      // 000000004624: DBFE0440 14000002
	v_fma_f32 v136, v12, v4, v136                              // 00000000462C: D1CB0088 0622090C
	v_fma_f32 v137, v13, v4, v137                              // 000000004634: D1CB0089 0626090D
	v_fma_f32 v138, v14, v4, v138                              // 00000000463C: D1CB008A 062A090E
	v_fma_f32 v139, v15, v4, v139                              // 000000004644: D1CB008B 062E090F
	v_mfma_f32_16x16x32_fp8_fp8 v[12:15], a[120:121], a[32:33], 0// 00000000464C: D3F3000C 1A024178
	v_mfma_f32_16x16x32_fp8_fp8 v[12:15], a[122:123], a[34:35], v[12:15]// 000000004654: D3F3000C 1C32457A
	buffer_load_dwordx4 a[76:79], v53, s[24:27], 0 offen offset:1024// 00000000465C: E05C1400 80864C35
	v_mfma_f32_16x16x32_fp8_fp8 v[12:15], a[124:125], a[36:37], v[12:15]// 000000004664: D3F3000C 1C32497C
	v_mfma_f32_16x16x32_fp8_fp8 v[12:15], a[126:127], a[38:39], v[12:15]// 00000000466C: D3F3000C 1C324D7E
	ds_read_b128 a[24:27], v2 offset:1536                      // 000000004674: DBFE0600 18000002
	ds_read_b128 a[28:31], v2 offset:1600                      // 00000000467C: DBFE0640 1C000002
	v_fma_f32 v152, v8, v6, v152                               // 000000004684: D1CB0098 06620D08
	v_fma_f32 v153, v9, v6, v153                               // 00000000468C: D1CB0099 06660D09
	v_fma_f32 v154, v10, v6, v154                              // 000000004694: D1CB009A 066A0D0A
	v_fma_f32 v155, v11, v6, v155                              // 00000000469C: D1CB009B 066E0D0B
	v_mul_f32_dpp v4, v27, v41 row_newbcast:0 row_mask:0xf bank_mask:0xf// 0000000046A4: 0A0852FA FF01501B
	v_mfma_f32_16x16x32_fp8_fp8 v[8:11], a[96:97], a[40:41], 0 // 0000000046AC: D3F30008 1A025160
	v_mfma_f32_16x16x32_fp8_fp8 v[8:11], a[98:99], a[42:43], v[8:11]// 0000000046B4: D3F30008 1C225562
	buffer_load_dwordx4 a[80:83], v54, s[24:27], 0 offen       // 0000000046BC: E05C1000 80865036
	v_mfma_f32_16x16x32_fp8_fp8 v[8:11], a[100:101], a[44:45], v[8:11]// 0000000046C4: D3F30008 1C225964
	v_mfma_f32_16x16x32_fp8_fp8 v[8:11], a[102:103], a[46:47], v[8:11]// 0000000046CC: D3F30008 1C225D66
	v_fma_f32 v168, v12, v6, v168                              // 0000000046D4: D1CB00A8 06A20D0C
	v_fma_f32 v169, v13, v6, v169                              // 0000000046DC: D1CB00A9 06A60D0D
	v_fma_f32 v170, v14, v6, v170                              // 0000000046E4: D1CB00AA 06AA0D0E
	v_fma_f32 v171, v15, v6, v171                              // 0000000046EC: D1CB00AB 06AE0D0F
	v_mfma_f32_16x16x32_fp8_fp8 v[12:15], a[104:105], a[40:41], 0// 0000000046F4: D3F3000C 1A025168
	v_mfma_f32_16x16x32_fp8_fp8 v[12:15], a[106:107], a[42:43], v[12:15]// 0000000046FC: D3F3000C 1C32556A
	buffer_load_dwordx4 a[84:87], v54, s[24:27], 0 offen offset:1024// 000000004704: E05C1400 80865436
	v_mfma_f32_16x16x32_fp8_fp8 v[12:15], a[108:109], a[44:45], v[12:15]// 00000000470C: D3F3000C 1C32596C
	v_mfma_f32_16x16x32_fp8_fp8 v[12:15], a[110:111], a[46:47], v[12:15]// 000000004714: D3F3000C 1C325D6E
	v_fma_f32 v124, v8, v4, v124                               // 00000000471C: D1CB007C 05F20908
	v_fma_f32 v125, v9, v4, v125                               // 000000004724: D1CB007D 05F60909
	v_fma_f32 v126, v10, v4, v126                              // 00000000472C: D1CB007E 05FA090A
	v_fma_f32 v127, v11, v4, v127                              // 000000004734: D1CB007F 05FE090B
	v_mul_f32_dpp v6, v27, v41 row_newbcast:1 row_mask:0xf bank_mask:0xf// 00000000473C: 0A0C52FA FF01511B
	v_mfma_f32_16x16x32_fp8_fp8 v[8:11], a[112:113], a[40:41], 0// 000000004744: D3F30008 1A025170
	v_mfma_f32_16x16x32_fp8_fp8 v[8:11], a[114:115], a[42:43], v[8:11]// 00000000474C: D3F30008 1C225572
	buffer_load_dwordx4 a[88:91], v55, s[24:27], 0 offen       // 000000004754: E05C1000 80865837
	v_mfma_f32_16x16x32_fp8_fp8 v[8:11], a[116:117], a[44:45], v[8:11]// 00000000475C: D3F30008 1C225974
	v_mfma_f32_16x16x32_fp8_fp8 v[8:11], a[118:119], a[46:47], v[8:11]// 000000004764: D3F30008 1C225D76
	v_fma_f32 v140, v12, v4, v140                              // 00000000476C: D1CB008C 0632090C
	v_fma_f32 v141, v13, v4, v141                              // 000000004774: D1CB008D 0636090D
	v_fma_f32 v142, v14, v4, v142                              // 00000000477C: D1CB008E 063A090E
	v_fma_f32 v143, v15, v4, v143                              // 000000004784: D1CB008F 063E090F
	v_mfma_f32_16x16x32_fp8_fp8 v[12:15], a[120:121], a[40:41], 0// 00000000478C: D3F3000C 1A025178
	v_mfma_f32_16x16x32_fp8_fp8 v[12:15], a[122:123], a[42:43], v[12:15]// 000000004794: D3F3000C 1C32557A
	buffer_load_dwordx4 a[92:95], v55, s[24:27], 0 offen offset:1024// 00000000479C: E05C1400 80865C37
	v_mfma_f32_16x16x32_fp8_fp8 v[12:15], a[124:125], a[44:45], v[12:15]// 0000000047A4: D3F3000C 1C32597C
	v_mfma_f32_16x16x32_fp8_fp8 v[12:15], a[126:127], a[46:47], v[12:15]// 0000000047AC: D3F3000C 1C325D7E
	v_fma_f32 v156, v8, v6, v156                               // 0000000047B4: D1CB009C 06720D08
	v_fma_f32 v157, v9, v6, v157                               // 0000000047BC: D1CB009D 06760D09
	v_fma_f32 v158, v10, v6, v158                              // 0000000047C4: D1CB009E 067A0D0A
	v_fma_f32 v159, v11, v6, v159                              // 0000000047CC: D1CB009F 067E0D0B
	v_mul_f32_dpp v4, v27, v42 row_newbcast:0 row_mask:0xf bank_mask:0xf// 0000000047D4: 0A0854FA FF01501B
	v_mfma_f32_16x16x32_fp8_fp8 v[8:11], a[96:97], a[48:49], 0 // 0000000047DC: D3F30008 1A026160
	v_mfma_f32_16x16x32_fp8_fp8 v[8:11], a[98:99], a[50:51], v[8:11]// 0000000047E4: D3F30008 1C226562
	v_mfma_f32_16x16x32_fp8_fp8 v[8:11], a[100:101], a[52:53], v[8:11]// 0000000047EC: D3F30008 1C226964
	v_mfma_f32_16x16x32_fp8_fp8 v[8:11], a[102:103], a[54:55], v[8:11]// 0000000047F4: D3F30008 1C226D66
	v_fma_f32 v172, v12, v6, v172                              // 0000000047FC: D1CB00AC 06B20D0C
	v_fma_f32 v173, v13, v6, v173                              // 000000004804: D1CB00AD 06B60D0D
	v_fma_f32 v174, v14, v6, v174                              // 00000000480C: D1CB00AE 06BA0D0E
	v_fma_f32 v175, v15, v6, v175                              // 000000004814: D1CB00AF 06BE0D0F
	v_mfma_f32_16x16x32_fp8_fp8 v[12:15], a[104:105], a[48:49], 0// 00000000481C: D3F3000C 1A026168
	v_mfma_f32_16x16x32_fp8_fp8 v[12:15], a[106:107], a[50:51], v[12:15]// 000000004824: D3F3000C 1C32656A
	v_mfma_f32_16x16x32_fp8_fp8 v[12:15], a[108:109], a[52:53], v[12:15]// 00000000482C: D3F3000C 1C32696C
	v_mfma_f32_16x16x32_fp8_fp8 v[12:15], a[110:111], a[54:55], v[12:15]// 000000004834: D3F3000C 1C326D6E
	v_fma_f32 v128, v8, v4, v128                               // 00000000483C: D1CB0080 06020908
	v_fma_f32 v129, v9, v4, v129                               // 000000004844: D1CB0081 06060909
	v_fma_f32 v130, v10, v4, v130                              // 00000000484C: D1CB0082 060A090A
	v_fma_f32 v131, v11, v4, v131                              // 000000004854: D1CB0083 060E090B
	v_mul_f32_dpp v6, v27, v42 row_newbcast:1 row_mask:0xf bank_mask:0xf// 00000000485C: 0A0C54FA FF01511B
	v_mfma_f32_16x16x32_fp8_fp8 v[8:11], a[112:113], a[48:49], 0// 000000004864: D3F30008 1A026170
	v_mfma_f32_16x16x32_fp8_fp8 v[8:11], a[114:115], a[50:51], v[8:11]// 00000000486C: D3F30008 1C226572
	v_mfma_f32_16x16x32_fp8_fp8 v[8:11], a[116:117], a[52:53], v[8:11]// 000000004874: D3F30008 1C226974
	v_mfma_f32_16x16x32_fp8_fp8 v[8:11], a[118:119], a[54:55], v[8:11]// 00000000487C: D3F30008 1C226D76
	v_fma_f32 v144, v12, v4, v144                              // 000000004884: D1CB0090 0642090C
	v_fma_f32 v145, v13, v4, v145                              // 00000000488C: D1CB0091 0646090D
	v_fma_f32 v146, v14, v4, v146                              // 000000004894: D1CB0092 064A090E
	v_fma_f32 v147, v15, v4, v147                              // 00000000489C: D1CB0093 064E090F
	v_mfma_f32_16x16x32_fp8_fp8 v[12:15], a[120:121], a[48:49], 0// 0000000048A4: D3F3000C 1A026178
	v_mfma_f32_16x16x32_fp8_fp8 v[12:15], a[122:123], a[50:51], v[12:15]// 0000000048AC: D3F3000C 1C32657A
	v_mfma_f32_16x16x32_fp8_fp8 v[12:15], a[124:125], a[52:53], v[12:15]// 0000000048B4: D3F3000C 1C32697C
	v_mfma_f32_16x16x32_fp8_fp8 v[12:15], a[126:127], a[54:55], v[12:15]// 0000000048BC: D3F3000C 1C326D7E
	v_fma_f32 v160, v8, v6, v160                               // 0000000048C4: D1CB00A0 06820D08
	v_fma_f32 v161, v9, v6, v161                               // 0000000048CC: D1CB00A1 06860D09
	v_fma_f32 v162, v10, v6, v162                              // 0000000048D4: D1CB00A2 068A0D0A
	v_fma_f32 v163, v11, v6, v163                              // 0000000048DC: D1CB00A3 068E0D0B
	v_mul_f32_dpp v4, v27, v43 row_newbcast:0 row_mask:0xf bank_mask:0xf// 0000000048E4: 0A0856FA FF01501B
	v_mfma_f32_16x16x32_fp8_fp8 v[8:11], a[96:97], a[56:57], 0 // 0000000048EC: D3F30008 1A027160
	v_mfma_f32_16x16x32_fp8_fp8 v[8:11], a[98:99], a[58:59], v[8:11]// 0000000048F4: D3F30008 1C227562
	v_mfma_f32_16x16x32_fp8_fp8 v[8:11], a[100:101], a[60:61], v[8:11]// 0000000048FC: D3F30008 1C227964
	v_mfma_f32_16x16x32_fp8_fp8 v[8:11], a[102:103], a[62:63], v[8:11]// 000000004904: D3F30008 1C227D66
	v_fma_f32 v176, v12, v6, v176                              // 00000000490C: D1CB00B0 06C20D0C
	v_fma_f32 v177, v13, v6, v177                              // 000000004914: D1CB00B1 06C60D0D
	v_fma_f32 v178, v14, v6, v178                              // 00000000491C: D1CB00B2 06CA0D0E
	v_fma_f32 v179, v15, v6, v179                              // 000000004924: D1CB00B3 06CE0D0F
	v_mfma_f32_16x16x32_fp8_fp8 v[12:15], a[104:105], a[56:57], 0// 00000000492C: D3F3000C 1A027168
	v_mfma_f32_16x16x32_fp8_fp8 v[12:15], a[106:107], a[58:59], v[12:15]// 000000004934: D3F3000C 1C32756A
	v_mfma_f32_16x16x32_fp8_fp8 v[12:15], a[108:109], a[60:61], v[12:15]// 00000000493C: D3F3000C 1C32796C
	v_mfma_f32_16x16x32_fp8_fp8 v[12:15], a[110:111], a[62:63], v[12:15]// 000000004944: D3F3000C 1C327D6E
	v_fma_f32 v132, v8, v4, v132                               // 00000000494C: D1CB0084 06120908
	v_fma_f32 v133, v9, v4, v133                               // 000000004954: D1CB0085 06160909
	v_fma_f32 v134, v10, v4, v134                              // 00000000495C: D1CB0086 061A090A
	v_fma_f32 v135, v11, v4, v135                              // 000000004964: D1CB0087 061E090B
	v_mul_f32_dpp v6, v27, v43 row_newbcast:1 row_mask:0xf bank_mask:0xf// 00000000496C: 0A0C56FA FF01511B
	v_mfma_f32_16x16x32_fp8_fp8 v[8:11], a[112:113], a[56:57], 0// 000000004974: D3F30008 1A027170
	v_mfma_f32_16x16x32_fp8_fp8 v[8:11], a[114:115], a[58:59], v[8:11]// 00000000497C: D3F30008 1C227572
	v_mfma_f32_16x16x32_fp8_fp8 v[8:11], a[116:117], a[60:61], v[8:11]// 000000004984: D3F30008 1C227974
	s_add_u32 s60, 0x180, s80                                  // 00000000498C: 803C50FF 00000180
	s_cmp_lt_u32 s60, s81                                      // 000000004994: BF0A513C
	s_cselect_b32 s57, s57, 0                                  // 000000004998: 85398039
	s_cselect_b32 s3, s3, 0                                    // 00000000499C: 85038003
	v_mfma_f32_16x16x32_fp8_fp8 v[8:11], a[118:119], a[62:63], v[8:11]// 0000000049A0: D3F30008 1C227D76
	s_add_u32 s60, 0x100, s80                                  // 0000000049A8: 803C50FF 00000100
	s_cmp_lt_u32 s60, s81                                      // 0000000049B0: BF0A513C
	s_cselect_b32 s58, s58, 0                                  // 0000000049B4: 853A803A
	v_fma_f32 v148, v12, v4, v148                              // 0000000049B8: D1CB0094 0652090C
	v_fma_f32 v149, v13, v4, v149                              // 0000000049C0: D1CB0095 0656090D
	v_fma_f32 v150, v14, v4, v150                              // 0000000049C8: D1CB0096 065A090E
	v_fma_f32 v151, v15, v4, v151                              // 0000000049D0: D1CB0097 065E090F
	v_mfma_f32_16x16x32_fp8_fp8 v[12:15], a[120:121], a[56:57], 0// 0000000049D8: D3F3000C 1A027178
	s_add_u32 s24, s58, s24                                    // 0000000049E0: 8018183A
	s_addc_u32 s25, 0, s25                                     // 0000000049E4: 82191980
	v_mfma_f32_16x16x32_fp8_fp8 v[12:15], a[122:123], a[58:59], v[12:15]// 0000000049E8: D3F3000C 1C32757A
	s_add_u32 s20, s57, s20                                    // 0000000049F0: 80141439
	s_addc_u32 s21, 0, s21                                     // 0000000049F4: 82151580
	s_add_u32 s28, s3, s28                                     // 0000000049F8: 801C1C03
	s_addc_u32 s29, 0, s29                                     // 0000000049FC: 821D1D80
	v_mfma_f32_16x16x32_fp8_fp8 v[12:15], a[124:125], a[60:61], v[12:15]// 000000004A00: D3F3000C 1C32797C
	s_add_u32 s84, s83, s84                                    // 000000004A08: 80545453
	s_addc_u32 s85, 0, s85                                     // 000000004A0C: 82555580
	v_mfma_f32_16x16x32_fp8_fp8 v[12:15], a[126:127], a[62:63], v[12:15]// 000000004A10: D3F3000C 1C327D7E
	v_fma_f32 v164, v8, v6, v164                               // 000000004A18: D1CB00A4 06920D08
	v_fma_f32 v165, v9, v6, v165                               // 000000004A20: D1CB00A5 06960D09
	v_fma_f32 v166, v10, v6, v166                              // 000000004A28: D1CB00A6 069A0D0A
	v_fma_f32 v167, v11, v6, v167                              // 000000004A30: D1CB00A7 069E0D0B
	v_fma_f32 v180, v12, v6, v180                              // 000000004A38: D1CB00B4 06D20D0C
	v_fma_f32 v181, v13, v6, v181                              // 000000004A40: D1CB00B5 06D60D0D
	v_fma_f32 v182, v14, v6, v182                              // 000000004A48: D1CB00B6 06DA0D0E
	v_fma_f32 v183, v15, v6, v183                              // 000000004A50: D1CB00B7 06DE0D0F
	s_addk_i32 s80, 0x80                                       // 000000004A58: B7500080
	s_cmp_lt_i32 s80, s81                                      // 000000004A5C: BF045150
	s_cbranch_scc0 label_081A                                  // 000000004A60: BF840001
	s_branch label_02B9                                        // 000000004A64: BF82FA9F

0000000000004a68 <label_081A>:
	s_cmp_eq_u32 s88, 0                                        // 000000004A68: BF068058
	s_cbranch_scc0 label_116F                                  // 000000004A6C: BF840953
	s_cmp_eq_u32 s89, 0                                        // 000000004A70: BF068059
	s_cbranch_scc1 label_0AA3                                  // 000000004A74: BF850285
	v_mov_b32_e32 v8, v1                                       // 000000004A78: 7E100301
	v_mov_b32_e32 v9, v1                                       // 000000004A7C: 7E120301
	s_mov_b32 s60, s6                                          // 000000004A80: BEBC0006
	s_mov_b32 s61, s6                                          // 000000004A84: BEBD0006
	v_pk_mul_f32 v[4:5], v[56:57], v[56:57]                    // 000000004A88: D3B14004 18027138
	v_pk_mul_f32 v[6:7], v[58:59], v[58:59]                    // 000000004A90: D3B14006 1802753A
	v_pk_fma_f32 v[4:5], v[4:5], s[78:79], v[8:9]              // 000000004A98: D3B04004 1C209D04
	v_pk_fma_f32 v[6:7], v[6:7], s[78:79], v[8:9]              // 000000004AA0: D3B04006 1C209D06
	v_pk_mul_f32 v[4:5], v[4:5], v[56:57]                      // 000000004AA8: D3B14004 18027104
	v_pk_mul_f32 v[6:7], v[6:7], v[58:59]                      // 000000004AB0: D3B14006 18027506
	v_pk_mul_f32 v[4:5], v[4:5], s[60:61]                      // 000000004AB8: D3B14004 18007904
	v_pk_mul_f32 v[6:7], v[6:7], s[60:61]                      // 000000004AC0: D3B14006 18007906
	v_exp_f32_e32 v4, v4                                       // 000000004AC8: 7E084104
	v_exp_f32_e32 v5, v5                                       // 000000004ACC: 7E0A4105
	v_exp_f32_e32 v6, v6                                       // 000000004AD0: 7E0C4106
	v_exp_f32_e32 v7, v7                                       // 000000004AD4: 7E0E4107
	v_add_f32_e64 v4, v4, 1.0                                  // 000000004AD8: D1010004 0001E504
	v_add_f32_e64 v5, v5, 1.0                                  // 000000004AE0: D1010005 0001E505
	v_add_f32_e64 v6, v6, 1.0                                  // 000000004AE8: D1010006 0001E506
	v_add_f32_e64 v7, v7, 1.0                                  // 000000004AF0: D1010007 0001E507
	v_rcp_f32_e32 v4, v4                                       // 000000004AF8: 7E084504
	v_rcp_f32_e32 v5, v5                                       // 000000004AFC: 7E0A4505
	v_rcp_f32_e32 v6, v6                                       // 000000004B00: 7E0C4506
	v_rcp_f32_e32 v7, v7                                       // 000000004B04: 7E0E4507
	v_mul_f32_e32 v56, v56, v4                                 // 000000004B08: 0A700938
	v_mul_f32_e32 v57, v57, v5                                 // 000000004B0C: 0A720B39
	v_mul_f32_e32 v58, v58, v6                                 // 000000004B10: 0A740D3A
	v_mul_f32_e32 v59, v59, v7                                 // 000000004B14: 0A760F3B
	v_mul_f32_e32 v56, v56, v120                               // 000000004B18: 0A70F138
	v_mul_f32_e32 v57, v57, v121                               // 000000004B1C: 0A72F339
	v_mul_f32_e32 v58, v58, v122                               // 000000004B20: 0A74F53A
	v_mul_f32_e32 v59, v59, v123                               // 000000004B24: 0A76F73B
	v_pk_mul_f32 v[4:5], v[60:61], v[60:61]                    // 000000004B28: D3B14004 1802793C
	v_pk_mul_f32 v[6:7], v[62:63], v[62:63]                    // 000000004B30: D3B14006 18027D3E
	v_pk_fma_f32 v[4:5], v[4:5], s[78:79], v[8:9]              // 000000004B38: D3B04004 1C209D04
	v_pk_fma_f32 v[6:7], v[6:7], s[78:79], v[8:9]              // 000000004B40: D3B04006 1C209D06
	v_pk_mul_f32 v[4:5], v[4:5], v[60:61]                      // 000000004B48: D3B14004 18027904
	v_pk_mul_f32 v[6:7], v[6:7], v[62:63]                      // 000000004B50: D3B14006 18027D06
	v_pk_mul_f32 v[4:5], v[4:5], s[60:61]                      // 000000004B58: D3B14004 18007904
	v_pk_mul_f32 v[6:7], v[6:7], s[60:61]                      // 000000004B60: D3B14006 18007906
	v_exp_f32_e32 v4, v4                                       // 000000004B68: 7E084104
	v_exp_f32_e32 v5, v5                                       // 000000004B6C: 7E0A4105
	v_exp_f32_e32 v6, v6                                       // 000000004B70: 7E0C4106
	v_exp_f32_e32 v7, v7                                       // 000000004B74: 7E0E4107
	v_add_f32_e64 v4, v4, 1.0                                  // 000000004B78: D1010004 0001E504
	v_add_f32_e64 v5, v5, 1.0                                  // 000000004B80: D1010005 0001E505
	v_add_f32_e64 v6, v6, 1.0                                  // 000000004B88: D1010006 0001E506
	v_add_f32_e64 v7, v7, 1.0                                  // 000000004B90: D1010007 0001E507
	v_rcp_f32_e32 v4, v4                                       // 000000004B98: 7E084504
	v_rcp_f32_e32 v5, v5                                       // 000000004B9C: 7E0A4505
	v_rcp_f32_e32 v6, v6                                       // 000000004BA0: 7E0C4506
	v_rcp_f32_e32 v7, v7                                       // 000000004BA4: 7E0E4507
	v_mul_f32_e32 v60, v60, v4                                 // 000000004BA8: 0A78093C
	v_mul_f32_e32 v61, v61, v5                                 // 000000004BAC: 0A7A0B3D
	v_mul_f32_e32 v62, v62, v6                                 // 000000004BB0: 0A7C0D3E
	v_mul_f32_e32 v63, v63, v7                                 // 000000004BB4: 0A7E0F3F
	v_mul_f32_e32 v60, v60, v124                               // 000000004BB8: 0A78F93C
	v_mul_f32_e32 v61, v61, v125                               // 000000004BBC: 0A7AFB3D
	v_mul_f32_e32 v62, v62, v126                               // 000000004BC0: 0A7CFD3E
	v_mul_f32_e32 v63, v63, v127                               // 000000004BC4: 0A7EFF3F
	v_pk_mul_f32 v[4:5], v[64:65], v[64:65]                    // 000000004BC8: D3B14004 18028140
	v_pk_mul_f32 v[6:7], v[66:67], v[66:67]                    // 000000004BD0: D3B14006 18028542
	v_pk_fma_f32 v[4:5], v[4:5], s[78:79], v[8:9]              // 000000004BD8: D3B04004 1C209D04
	v_pk_fma_f32 v[6:7], v[6:7], s[78:79], v[8:9]              // 000000004BE0: D3B04006 1C209D06
	v_pk_mul_f32 v[4:5], v[4:5], v[64:65]                      // 000000004BE8: D3B14004 18028104
	v_pk_mul_f32 v[6:7], v[6:7], v[66:67]                      // 000000004BF0: D3B14006 18028506
	v_pk_mul_f32 v[4:5], v[4:5], s[60:61]                      // 000000004BF8: D3B14004 18007904
	v_pk_mul_f32 v[6:7], v[6:7], s[60:61]                      // 000000004C00: D3B14006 18007906
	v_exp_f32_e32 v4, v4                                       // 000000004C08: 7E084104
	v_exp_f32_e32 v5, v5                                       // 000000004C0C: 7E0A4105
	v_exp_f32_e32 v6, v6                                       // 000000004C10: 7E0C4106
	v_exp_f32_e32 v7, v7                                       // 000000004C14: 7E0E4107
	v_add_f32_e64 v4, v4, 1.0                                  // 000000004C18: D1010004 0001E504
	v_add_f32_e64 v5, v5, 1.0                                  // 000000004C20: D1010005 0001E505
	v_add_f32_e64 v6, v6, 1.0                                  // 000000004C28: D1010006 0001E506
	v_add_f32_e64 v7, v7, 1.0                                  // 000000004C30: D1010007 0001E507
	v_rcp_f32_e32 v4, v4                                       // 000000004C38: 7E084504
	v_rcp_f32_e32 v5, v5                                       // 000000004C3C: 7E0A4505
	v_rcp_f32_e32 v6, v6                                       // 000000004C40: 7E0C4506
	v_rcp_f32_e32 v7, v7                                       // 000000004C44: 7E0E4507
	v_mul_f32_e32 v64, v64, v4                                 // 000000004C48: 0A800940
	v_mul_f32_e32 v65, v65, v5                                 // 000000004C4C: 0A820B41
	v_mul_f32_e32 v66, v66, v6                                 // 000000004C50: 0A840D42
	v_mul_f32_e32 v67, v67, v7                                 // 000000004C54: 0A860F43
	v_mul_f32_e32 v64, v64, v128                               // 000000004C58: 0A810140
	v_mul_f32_e32 v65, v65, v129                               // 000000004C5C: 0A830341
	v_mul_f32_e32 v66, v66, v130                               // 000000004C60: 0A850542
	v_mul_f32_e32 v67, v67, v131                               // 000000004C64: 0A870743
	v_pk_mul_f32 v[4:5], v[68:69], v[68:69]                    // 000000004C68: D3B14004 18028944
	v_pk_mul_f32 v[6:7], v[70:71], v[70:71]                    // 000000004C70: D3B14006 18028D46
	v_pk_fma_f32 v[4:5], v[4:5], s[78:79], v[8:9]              // 000000004C78: D3B04004 1C209D04
	v_pk_fma_f32 v[6:7], v[6:7], s[78:79], v[8:9]              // 000000004C80: D3B04006 1C209D06
	v_pk_mul_f32 v[4:5], v[4:5], v[68:69]                      // 000000004C88: D3B14004 18028904
	v_pk_mul_f32 v[6:7], v[6:7], v[70:71]                      // 000000004C90: D3B14006 18028D06
	v_pk_mul_f32 v[4:5], v[4:5], s[60:61]                      // 000000004C98: D3B14004 18007904
	v_pk_mul_f32 v[6:7], v[6:7], s[60:61]                      // 000000004CA0: D3B14006 18007906
	v_exp_f32_e32 v4, v4                                       // 000000004CA8: 7E084104
	v_exp_f32_e32 v5, v5                                       // 000000004CAC: 7E0A4105
	v_exp_f32_e32 v6, v6                                       // 000000004CB0: 7E0C4106
	v_exp_f32_e32 v7, v7                                       // 000000004CB4: 7E0E4107
	v_add_f32_e64 v4, v4, 1.0                                  // 000000004CB8: D1010004 0001E504
	v_add_f32_e64 v5, v5, 1.0                                  // 000000004CC0: D1010005 0001E505
	v_add_f32_e64 v6, v6, 1.0                                  // 000000004CC8: D1010006 0001E506
	v_add_f32_e64 v7, v7, 1.0                                  // 000000004CD0: D1010007 0001E507
	v_rcp_f32_e32 v4, v4                                       // 000000004CD8: 7E084504
	v_rcp_f32_e32 v5, v5                                       // 000000004CDC: 7E0A4505
	v_rcp_f32_e32 v6, v6                                       // 000000004CE0: 7E0C4506
	v_rcp_f32_e32 v7, v7                                       // 000000004CE4: 7E0E4507
	v_mul_f32_e32 v68, v68, v4                                 // 000000004CE8: 0A880944
	v_mul_f32_e32 v69, v69, v5                                 // 000000004CEC: 0A8A0B45
	v_mul_f32_e32 v70, v70, v6                                 // 000000004CF0: 0A8C0D46
	v_mul_f32_e32 v71, v71, v7                                 // 000000004CF4: 0A8E0F47
	v_mul_f32_e32 v68, v68, v132                               // 000000004CF8: 0A890944
	v_mul_f32_e32 v69, v69, v133                               // 000000004CFC: 0A8B0B45
	v_mul_f32_e32 v70, v70, v134                               // 000000004D00: 0A8D0D46
	v_mul_f32_e32 v71, v71, v135                               // 000000004D04: 0A8F0F47
	v_pk_mul_f32 v[4:5], v[72:73], v[72:73]                    // 000000004D08: D3B14004 18029148
	v_pk_mul_f32 v[6:7], v[74:75], v[74:75]                    // 000000004D10: D3B14006 1802954A
	v_pk_fma_f32 v[4:5], v[4:5], s[78:79], v[8:9]              // 000000004D18: D3B04004 1C209D04
	v_pk_fma_f32 v[6:7], v[6:7], s[78:79], v[8:9]              // 000000004D20: D3B04006 1C209D06
	v_pk_mul_f32 v[4:5], v[4:5], v[72:73]                      // 000000004D28: D3B14004 18029104
	v_pk_mul_f32 v[6:7], v[6:7], v[74:75]                      // 000000004D30: D3B14006 18029506
	v_pk_mul_f32 v[4:5], v[4:5], s[60:61]                      // 000000004D38: D3B14004 18007904
	v_pk_mul_f32 v[6:7], v[6:7], s[60:61]                      // 000000004D40: D3B14006 18007906
	v_exp_f32_e32 v4, v4                                       // 000000004D48: 7E084104
	v_exp_f32_e32 v5, v5                                       // 000000004D4C: 7E0A4105
	v_exp_f32_e32 v6, v6                                       // 000000004D50: 7E0C4106
	v_exp_f32_e32 v7, v7                                       // 000000004D54: 7E0E4107
	v_add_f32_e64 v4, v4, 1.0                                  // 000000004D58: D1010004 0001E504
	v_add_f32_e64 v5, v5, 1.0                                  // 000000004D60: D1010005 0001E505
	v_add_f32_e64 v6, v6, 1.0                                  // 000000004D68: D1010006 0001E506
	v_add_f32_e64 v7, v7, 1.0                                  // 000000004D70: D1010007 0001E507
	v_rcp_f32_e32 v4, v4                                       // 000000004D78: 7E084504
	v_rcp_f32_e32 v5, v5                                       // 000000004D7C: 7E0A4505
	v_rcp_f32_e32 v6, v6                                       // 000000004D80: 7E0C4506
	v_rcp_f32_e32 v7, v7                                       // 000000004D84: 7E0E4507
	v_mul_f32_e32 v72, v72, v4                                 // 000000004D88: 0A900948
	v_mul_f32_e32 v73, v73, v5                                 // 000000004D8C: 0A920B49
	v_mul_f32_e32 v74, v74, v6                                 // 000000004D90: 0A940D4A
	v_mul_f32_e32 v75, v75, v7                                 // 000000004D94: 0A960F4B
	v_mul_f32_e32 v72, v72, v136                               // 000000004D98: 0A911148
	v_mul_f32_e32 v73, v73, v137                               // 000000004D9C: 0A931349
	v_mul_f32_e32 v74, v74, v138                               // 000000004DA0: 0A95154A
	v_mul_f32_e32 v75, v75, v139                               // 000000004DA4: 0A97174B
	v_pk_mul_f32 v[4:5], v[76:77], v[76:77]                    // 000000004DA8: D3B14004 1802994C
	v_pk_mul_f32 v[6:7], v[78:79], v[78:79]                    // 000000004DB0: D3B14006 18029D4E
	v_pk_fma_f32 v[4:5], v[4:5], s[78:79], v[8:9]              // 000000004DB8: D3B04004 1C209D04
	v_pk_fma_f32 v[6:7], v[6:7], s[78:79], v[8:9]              // 000000004DC0: D3B04006 1C209D06
	v_pk_mul_f32 v[4:5], v[4:5], v[76:77]                      // 000000004DC8: D3B14004 18029904
	v_pk_mul_f32 v[6:7], v[6:7], v[78:79]                      // 000000004DD0: D3B14006 18029D06
	v_pk_mul_f32 v[4:5], v[4:5], s[60:61]                      // 000000004DD8: D3B14004 18007904
	v_pk_mul_f32 v[6:7], v[6:7], s[60:61]                      // 000000004DE0: D3B14006 18007906
	v_exp_f32_e32 v4, v4                                       // 000000004DE8: 7E084104
	v_exp_f32_e32 v5, v5                                       // 000000004DEC: 7E0A4105
	v_exp_f32_e32 v6, v6                                       // 000000004DF0: 7E0C4106
	v_exp_f32_e32 v7, v7                                       // 000000004DF4: 7E0E4107
	v_add_f32_e64 v4, v4, 1.0                                  // 000000004DF8: D1010004 0001E504
	v_add_f32_e64 v5, v5, 1.0                                  // 000000004E00: D1010005 0001E505
	v_add_f32_e64 v6, v6, 1.0                                  // 000000004E08: D1010006 0001E506
	v_add_f32_e64 v7, v7, 1.0                                  // 000000004E10: D1010007 0001E507
	v_rcp_f32_e32 v4, v4                                       // 000000004E18: 7E084504
	v_rcp_f32_e32 v5, v5                                       // 000000004E1C: 7E0A4505
	v_rcp_f32_e32 v6, v6                                       // 000000004E20: 7E0C4506
	v_rcp_f32_e32 v7, v7                                       // 000000004E24: 7E0E4507
	v_mul_f32_e32 v76, v76, v4                                 // 000000004E28: 0A98094C
	v_mul_f32_e32 v77, v77, v5                                 // 000000004E2C: 0A9A0B4D
	v_mul_f32_e32 v78, v78, v6                                 // 000000004E30: 0A9C0D4E
	v_mul_f32_e32 v79, v79, v7                                 // 000000004E34: 0A9E0F4F
	v_mul_f32_e32 v76, v76, v140                               // 000000004E38: 0A99194C
	v_mul_f32_e32 v77, v77, v141                               // 000000004E3C: 0A9B1B4D
	v_mul_f32_e32 v78, v78, v142                               // 000000004E40: 0A9D1D4E
	v_mul_f32_e32 v79, v79, v143                               // 000000004E44: 0A9F1F4F
	v_pk_mul_f32 v[4:5], v[80:81], v[80:81]                    // 000000004E48: D3B14004 1802A150
	v_pk_mul_f32 v[6:7], v[82:83], v[82:83]                    // 000000004E50: D3B14006 1802A552
	v_pk_fma_f32 v[4:5], v[4:5], s[78:79], v[8:9]              // 000000004E58: D3B04004 1C209D04
	v_pk_fma_f32 v[6:7], v[6:7], s[78:79], v[8:9]              // 000000004E60: D3B04006 1C209D06
	v_pk_mul_f32 v[4:5], v[4:5], v[80:81]                      // 000000004E68: D3B14004 1802A104
	v_pk_mul_f32 v[6:7], v[6:7], v[82:83]                      // 000000004E70: D3B14006 1802A506
	v_pk_mul_f32 v[4:5], v[4:5], s[60:61]                      // 000000004E78: D3B14004 18007904
	v_pk_mul_f32 v[6:7], v[6:7], s[60:61]                      // 000000004E80: D3B14006 18007906
	v_exp_f32_e32 v4, v4                                       // 000000004E88: 7E084104
	v_exp_f32_e32 v5, v5                                       // 000000004E8C: 7E0A4105
	v_exp_f32_e32 v6, v6                                       // 000000004E90: 7E0C4106
	v_exp_f32_e32 v7, v7                                       // 000000004E94: 7E0E4107
	v_add_f32_e64 v4, v4, 1.0                                  // 000000004E98: D1010004 0001E504
	v_add_f32_e64 v5, v5, 1.0                                  // 000000004EA0: D1010005 0001E505
	v_add_f32_e64 v6, v6, 1.0                                  // 000000004EA8: D1010006 0001E506
	v_add_f32_e64 v7, v7, 1.0                                  // 000000004EB0: D1010007 0001E507
	v_rcp_f32_e32 v4, v4                                       // 000000004EB8: 7E084504
	v_rcp_f32_e32 v5, v5                                       // 000000004EBC: 7E0A4505
	v_rcp_f32_e32 v6, v6                                       // 000000004EC0: 7E0C4506
	v_rcp_f32_e32 v7, v7                                       // 000000004EC4: 7E0E4507
	v_mul_f32_e32 v80, v80, v4                                 // 000000004EC8: 0AA00950
	v_mul_f32_e32 v81, v81, v5                                 // 000000004ECC: 0AA20B51
	v_mul_f32_e32 v82, v82, v6                                 // 000000004ED0: 0AA40D52
	v_mul_f32_e32 v83, v83, v7                                 // 000000004ED4: 0AA60F53
	v_mul_f32_e32 v80, v80, v144                               // 000000004ED8: 0AA12150
	v_mul_f32_e32 v81, v81, v145                               // 000000004EDC: 0AA32351
	v_mul_f32_e32 v82, v82, v146                               // 000000004EE0: 0AA52552
	v_mul_f32_e32 v83, v83, v147                               // 000000004EE4: 0AA72753
	v_pk_mul_f32 v[4:5], v[84:85], v[84:85]                    // 000000004EE8: D3B14004 1802A954
	v_pk_mul_f32 v[6:7], v[86:87], v[86:87]                    // 000000004EF0: D3B14006 1802AD56
	v_pk_fma_f32 v[4:5], v[4:5], s[78:79], v[8:9]              // 000000004EF8: D3B04004 1C209D04
	v_pk_fma_f32 v[6:7], v[6:7], s[78:79], v[8:9]              // 000000004F00: D3B04006 1C209D06
	v_pk_mul_f32 v[4:5], v[4:5], v[84:85]                      // 000000004F08: D3B14004 1802A904
	v_pk_mul_f32 v[6:7], v[6:7], v[86:87]                      // 000000004F10: D3B14006 1802AD06
	v_pk_mul_f32 v[4:5], v[4:5], s[60:61]                      // 000000004F18: D3B14004 18007904
	v_pk_mul_f32 v[6:7], v[6:7], s[60:61]                      // 000000004F20: D3B14006 18007906
	v_exp_f32_e32 v4, v4                                       // 000000004F28: 7E084104
	v_exp_f32_e32 v5, v5                                       // 000000004F2C: 7E0A4105
	v_exp_f32_e32 v6, v6                                       // 000000004F30: 7E0C4106
	v_exp_f32_e32 v7, v7                                       // 000000004F34: 7E0E4107
	v_add_f32_e64 v4, v4, 1.0                                  // 000000004F38: D1010004 0001E504
	v_add_f32_e64 v5, v5, 1.0                                  // 000000004F40: D1010005 0001E505
	v_add_f32_e64 v6, v6, 1.0                                  // 000000004F48: D1010006 0001E506
	v_add_f32_e64 v7, v7, 1.0                                  // 000000004F50: D1010007 0001E507
	v_rcp_f32_e32 v4, v4                                       // 000000004F58: 7E084504
	v_rcp_f32_e32 v5, v5                                       // 000000004F5C: 7E0A4505
	v_rcp_f32_e32 v6, v6                                       // 000000004F60: 7E0C4506
	v_rcp_f32_e32 v7, v7                                       // 000000004F64: 7E0E4507
	v_mul_f32_e32 v84, v84, v4                                 // 000000004F68: 0AA80954
	v_mul_f32_e32 v85, v85, v5                                 // 000000004F6C: 0AAA0B55
	v_mul_f32_e32 v86, v86, v6                                 // 000000004F70: 0AAC0D56
	v_mul_f32_e32 v87, v87, v7                                 // 000000004F74: 0AAE0F57
	v_mul_f32_e32 v84, v84, v148                               // 000000004F78: 0AA92954
	v_mul_f32_e32 v85, v85, v149                               // 000000004F7C: 0AAB2B55
	v_mul_f32_e32 v86, v86, v150                               // 000000004F80: 0AAD2D56
	v_mul_f32_e32 v87, v87, v151                               // 000000004F84: 0AAF2F57
	v_pk_mul_f32 v[4:5], v[88:89], v[88:89]                    // 000000004F88: D3B14004 1802B158
	v_pk_mul_f32 v[6:7], v[90:91], v[90:91]                    // 000000004F90: D3B14006 1802B55A
	v_pk_fma_f32 v[4:5], v[4:5], s[78:79], v[8:9]              // 000000004F98: D3B04004 1C209D04
	v_pk_fma_f32 v[6:7], v[6:7], s[78:79], v[8:9]              // 000000004FA0: D3B04006 1C209D06
	v_pk_mul_f32 v[4:5], v[4:5], v[88:89]                      // 000000004FA8: D3B14004 1802B104
	v_pk_mul_f32 v[6:7], v[6:7], v[90:91]                      // 000000004FB0: D3B14006 1802B506
	v_pk_mul_f32 v[4:5], v[4:5], s[60:61]                      // 000000004FB8: D3B14004 18007904
	v_pk_mul_f32 v[6:7], v[6:7], s[60:61]                      // 000000004FC0: D3B14006 18007906
	v_exp_f32_e32 v4, v4                                       // 000000004FC8: 7E084104
	v_exp_f32_e32 v5, v5                                       // 000000004FCC: 7E0A4105
	v_exp_f32_e32 v6, v6                                       // 000000004FD0: 7E0C4106
	v_exp_f32_e32 v7, v7                                       // 000000004FD4: 7E0E4107
	v_add_f32_e64 v4, v4, 1.0                                  // 000000004FD8: D1010004 0001E504
	v_add_f32_e64 v5, v5, 1.0                                  // 000000004FE0: D1010005 0001E505
	v_add_f32_e64 v6, v6, 1.0                                  // 000000004FE8: D1010006 0001E506
	v_add_f32_e64 v7, v7, 1.0                                  // 000000004FF0: D1010007 0001E507
	v_rcp_f32_e32 v4, v4                                       // 000000004FF8: 7E084504
	v_rcp_f32_e32 v5, v5                                       // 000000004FFC: 7E0A4505
	v_rcp_f32_e32 v6, v6                                       // 000000005000: 7E0C4506
	v_rcp_f32_e32 v7, v7                                       // 000000005004: 7E0E4507
	v_mul_f32_e32 v88, v88, v4                                 // 000000005008: 0AB00958
	v_mul_f32_e32 v89, v89, v5                                 // 00000000500C: 0AB20B59
	v_mul_f32_e32 v90, v90, v6                                 // 000000005010: 0AB40D5A
	v_mul_f32_e32 v91, v91, v7                                 // 000000005014: 0AB60F5B
	v_mul_f32_e32 v88, v88, v152                               // 000000005018: 0AB13158
	v_mul_f32_e32 v89, v89, v153                               // 00000000501C: 0AB33359
	v_mul_f32_e32 v90, v90, v154                               // 000000005020: 0AB5355A
	v_mul_f32_e32 v91, v91, v155                               // 000000005024: 0AB7375B
	v_pk_mul_f32 v[4:5], v[92:93], v[92:93]                    // 000000005028: D3B14004 1802B95C
	v_pk_mul_f32 v[6:7], v[94:95], v[94:95]                    // 000000005030: D3B14006 1802BD5E
	v_pk_fma_f32 v[4:5], v[4:5], s[78:79], v[8:9]              // 000000005038: D3B04004 1C209D04
	v_pk_fma_f32 v[6:7], v[6:7], s[78:79], v[8:9]              // 000000005040: D3B04006 1C209D06
	v_pk_mul_f32 v[4:5], v[4:5], v[92:93]                      // 000000005048: D3B14004 1802B904
	v_pk_mul_f32 v[6:7], v[6:7], v[94:95]                      // 000000005050: D3B14006 1802BD06
	v_pk_mul_f32 v[4:5], v[4:5], s[60:61]                      // 000000005058: D3B14004 18007904
	v_pk_mul_f32 v[6:7], v[6:7], s[60:61]                      // 000000005060: D3B14006 18007906
	v_exp_f32_e32 v4, v4                                       // 000000005068: 7E084104
	v_exp_f32_e32 v5, v5                                       // 00000000506C: 7E0A4105
	v_exp_f32_e32 v6, v6                                       // 000000005070: 7E0C4106
	v_exp_f32_e32 v7, v7                                       // 000000005074: 7E0E4107
	v_add_f32_e64 v4, v4, 1.0                                  // 000000005078: D1010004 0001E504
	v_add_f32_e64 v5, v5, 1.0                                  // 000000005080: D1010005 0001E505
	v_add_f32_e64 v6, v6, 1.0                                  // 000000005088: D1010006 0001E506
	v_add_f32_e64 v7, v7, 1.0                                  // 000000005090: D1010007 0001E507
	v_rcp_f32_e32 v4, v4                                       // 000000005098: 7E084504
	v_rcp_f32_e32 v5, v5                                       // 00000000509C: 7E0A4505
	v_rcp_f32_e32 v6, v6                                       // 0000000050A0: 7E0C4506
	v_rcp_f32_e32 v7, v7                                       // 0000000050A4: 7E0E4507
	v_mul_f32_e32 v92, v92, v4                                 // 0000000050A8: 0AB8095C
	v_mul_f32_e32 v93, v93, v5                                 // 0000000050AC: 0ABA0B5D
	v_mul_f32_e32 v94, v94, v6                                 // 0000000050B0: 0ABC0D5E
	v_mul_f32_e32 v95, v95, v7                                 // 0000000050B4: 0ABE0F5F
	v_mul_f32_e32 v92, v92, v156                               // 0000000050B8: 0AB9395C
	v_mul_f32_e32 v93, v93, v157                               // 0000000050BC: 0ABB3B5D
	v_mul_f32_e32 v94, v94, v158                               // 0000000050C0: 0ABD3D5E
	v_mul_f32_e32 v95, v95, v159                               // 0000000050C4: 0ABF3F5F
	v_pk_mul_f32 v[4:5], v[96:97], v[96:97]                    // 0000000050C8: D3B14004 1802C160
	v_pk_mul_f32 v[6:7], v[98:99], v[98:99]                    // 0000000050D0: D3B14006 1802C562
	v_pk_fma_f32 v[4:5], v[4:5], s[78:79], v[8:9]              // 0000000050D8: D3B04004 1C209D04
	v_pk_fma_f32 v[6:7], v[6:7], s[78:79], v[8:9]              // 0000000050E0: D3B04006 1C209D06
	v_pk_mul_f32 v[4:5], v[4:5], v[96:97]                      // 0000000050E8: D3B14004 1802C104
	v_pk_mul_f32 v[6:7], v[6:7], v[98:99]                      // 0000000050F0: D3B14006 1802C506
	v_pk_mul_f32 v[4:5], v[4:5], s[60:61]                      // 0000000050F8: D3B14004 18007904
	v_pk_mul_f32 v[6:7], v[6:7], s[60:61]                      // 000000005100: D3B14006 18007906
	v_exp_f32_e32 v4, v4                                       // 000000005108: 7E084104
	v_exp_f32_e32 v5, v5                                       // 00000000510C: 7E0A4105
	v_exp_f32_e32 v6, v6                                       // 000000005110: 7E0C4106
	v_exp_f32_e32 v7, v7                                       // 000000005114: 7E0E4107
	v_add_f32_e64 v4, v4, 1.0                                  // 000000005118: D1010004 0001E504
	v_add_f32_e64 v5, v5, 1.0                                  // 000000005120: D1010005 0001E505
	v_add_f32_e64 v6, v6, 1.0                                  // 000000005128: D1010006 0001E506
	v_add_f32_e64 v7, v7, 1.0                                  // 000000005130: D1010007 0001E507
	v_rcp_f32_e32 v4, v4                                       // 000000005138: 7E084504
	v_rcp_f32_e32 v5, v5                                       // 00000000513C: 7E0A4505
	v_rcp_f32_e32 v6, v6                                       // 000000005140: 7E0C4506
	v_rcp_f32_e32 v7, v7                                       // 000000005144: 7E0E4507
	v_mul_f32_e32 v96, v96, v4                                 // 000000005148: 0AC00960
	v_mul_f32_e32 v97, v97, v5                                 // 00000000514C: 0AC20B61
	v_mul_f32_e32 v98, v98, v6                                 // 000000005150: 0AC40D62
	v_mul_f32_e32 v99, v99, v7                                 // 000000005154: 0AC60F63
	v_mul_f32_e32 v96, v96, v160                               // 000000005158: 0AC14160
	v_mul_f32_e32 v97, v97, v161                               // 00000000515C: 0AC34361
	v_mul_f32_e32 v98, v98, v162                               // 000000005160: 0AC54562
	v_mul_f32_e32 v99, v99, v163                               // 000000005164: 0AC74763
	v_pk_mul_f32 v[4:5], v[100:101], v[100:101]                // 000000005168: D3B14004 1802C964
	v_pk_mul_f32 v[6:7], v[102:103], v[102:103]                // 000000005170: D3B14006 1802CD66
	v_pk_fma_f32 v[4:5], v[4:5], s[78:79], v[8:9]              // 000000005178: D3B04004 1C209D04
	v_pk_fma_f32 v[6:7], v[6:7], s[78:79], v[8:9]              // 000000005180: D3B04006 1C209D06
	v_pk_mul_f32 v[4:5], v[4:5], v[100:101]                    // 000000005188: D3B14004 1802C904
	v_pk_mul_f32 v[6:7], v[6:7], v[102:103]                    // 000000005190: D3B14006 1802CD06
	v_pk_mul_f32 v[4:5], v[4:5], s[60:61]                      // 000000005198: D3B14004 18007904
	v_pk_mul_f32 v[6:7], v[6:7], s[60:61]                      // 0000000051A0: D3B14006 18007906
	v_exp_f32_e32 v4, v4                                       // 0000000051A8: 7E084104
	v_exp_f32_e32 v5, v5                                       // 0000000051AC: 7E0A4105
	v_exp_f32_e32 v6, v6                                       // 0000000051B0: 7E0C4106
	v_exp_f32_e32 v7, v7                                       // 0000000051B4: 7E0E4107
	v_add_f32_e64 v4, v4, 1.0                                  // 0000000051B8: D1010004 0001E504
	v_add_f32_e64 v5, v5, 1.0                                  // 0000000051C0: D1010005 0001E505
	v_add_f32_e64 v6, v6, 1.0                                  // 0000000051C8: D1010006 0001E506
	v_add_f32_e64 v7, v7, 1.0                                  // 0000000051D0: D1010007 0001E507
	v_rcp_f32_e32 v4, v4                                       // 0000000051D8: 7E084504
	v_rcp_f32_e32 v5, v5                                       // 0000000051DC: 7E0A4505
	v_rcp_f32_e32 v6, v6                                       // 0000000051E0: 7E0C4506
	v_rcp_f32_e32 v7, v7                                       // 0000000051E4: 7E0E4507
	v_mul_f32_e32 v100, v100, v4                               // 0000000051E8: 0AC80964
	v_mul_f32_e32 v101, v101, v5                               // 0000000051EC: 0ACA0B65
	v_mul_f32_e32 v102, v102, v6                               // 0000000051F0: 0ACC0D66
	v_mul_f32_e32 v103, v103, v7                               // 0000000051F4: 0ACE0F67
	v_mul_f32_e32 v100, v100, v164                             // 0000000051F8: 0AC94964
	v_mul_f32_e32 v101, v101, v165                             // 0000000051FC: 0ACB4B65
	v_mul_f32_e32 v102, v102, v166                             // 000000005200: 0ACD4D66
	v_mul_f32_e32 v103, v103, v167                             // 000000005204: 0ACF4F67
	v_pk_mul_f32 v[4:5], v[104:105], v[104:105]                // 000000005208: D3B14004 1802D168
	v_pk_mul_f32 v[6:7], v[106:107], v[106:107]                // 000000005210: D3B14006 1802D56A
	v_pk_fma_f32 v[4:5], v[4:5], s[78:79], v[8:9]              // 000000005218: D3B04004 1C209D04
	v_pk_fma_f32 v[6:7], v[6:7], s[78:79], v[8:9]              // 000000005220: D3B04006 1C209D06
	v_pk_mul_f32 v[4:5], v[4:5], v[104:105]                    // 000000005228: D3B14004 1802D104
	v_pk_mul_f32 v[6:7], v[6:7], v[106:107]                    // 000000005230: D3B14006 1802D506
	v_pk_mul_f32 v[4:5], v[4:5], s[60:61]                      // 000000005238: D3B14004 18007904
	v_pk_mul_f32 v[6:7], v[6:7], s[60:61]                      // 000000005240: D3B14006 18007906
	v_exp_f32_e32 v4, v4                                       // 000000005248: 7E084104
	v_exp_f32_e32 v5, v5                                       // 00000000524C: 7E0A4105
	v_exp_f32_e32 v6, v6                                       // 000000005250: 7E0C4106
	v_exp_f32_e32 v7, v7                                       // 000000005254: 7E0E4107
	v_add_f32_e64 v4, v4, 1.0                                  // 000000005258: D1010004 0001E504
	v_add_f32_e64 v5, v5, 1.0                                  // 000000005260: D1010005 0001E505
	v_add_f32_e64 v6, v6, 1.0                                  // 000000005268: D1010006 0001E506
	v_add_f32_e64 v7, v7, 1.0                                  // 000000005270: D1010007 0001E507
	v_rcp_f32_e32 v4, v4                                       // 000000005278: 7E084504
	v_rcp_f32_e32 v5, v5                                       // 00000000527C: 7E0A4505
	v_rcp_f32_e32 v6, v6                                       // 000000005280: 7E0C4506
	v_rcp_f32_e32 v7, v7                                       // 000000005284: 7E0E4507
	v_mul_f32_e32 v104, v104, v4                               // 000000005288: 0AD00968
	v_mul_f32_e32 v105, v105, v5                               // 00000000528C: 0AD20B69
	v_mul_f32_e32 v106, v106, v6                               // 000000005290: 0AD40D6A
	v_mul_f32_e32 v107, v107, v7                               // 000000005294: 0AD60F6B
	v_mul_f32_e32 v104, v104, v168                             // 000000005298: 0AD15168
	v_mul_f32_e32 v105, v105, v169                             // 00000000529C: 0AD35369
	v_mul_f32_e32 v106, v106, v170                             // 0000000052A0: 0AD5556A
	v_mul_f32_e32 v107, v107, v171                             // 0000000052A4: 0AD7576B
	v_pk_mul_f32 v[4:5], v[108:109], v[108:109]                // 0000000052A8: D3B14004 1802D96C
	v_pk_mul_f32 v[6:7], v[110:111], v[110:111]                // 0000000052B0: D3B14006 1802DD6E
	v_pk_fma_f32 v[4:5], v[4:5], s[78:79], v[8:9]              // 0000000052B8: D3B04004 1C209D04
	v_pk_fma_f32 v[6:7], v[6:7], s[78:79], v[8:9]              // 0000000052C0: D3B04006 1C209D06
	v_pk_mul_f32 v[4:5], v[4:5], v[108:109]                    // 0000000052C8: D3B14004 1802D904
	v_pk_mul_f32 v[6:7], v[6:7], v[110:111]                    // 0000000052D0: D3B14006 1802DD06
	v_pk_mul_f32 v[4:5], v[4:5], s[60:61]                      // 0000000052D8: D3B14004 18007904
	v_pk_mul_f32 v[6:7], v[6:7], s[60:61]                      // 0000000052E0: D3B14006 18007906
	v_exp_f32_e32 v4, v4                                       // 0000000052E8: 7E084104
	v_exp_f32_e32 v5, v5                                       // 0000000052EC: 7E0A4105
	v_exp_f32_e32 v6, v6                                       // 0000000052F0: 7E0C4106
	v_exp_f32_e32 v7, v7                                       // 0000000052F4: 7E0E4107
	v_add_f32_e64 v4, v4, 1.0                                  // 0000000052F8: D1010004 0001E504
	v_add_f32_e64 v5, v5, 1.0                                  // 000000005300: D1010005 0001E505
	v_add_f32_e64 v6, v6, 1.0                                  // 000000005308: D1010006 0001E506
	v_add_f32_e64 v7, v7, 1.0                                  // 000000005310: D1010007 0001E507
	v_rcp_f32_e32 v4, v4                                       // 000000005318: 7E084504
	v_rcp_f32_e32 v5, v5                                       // 00000000531C: 7E0A4505
	v_rcp_f32_e32 v6, v6                                       // 000000005320: 7E0C4506
	v_rcp_f32_e32 v7, v7                                       // 000000005324: 7E0E4507
	v_mul_f32_e32 v108, v108, v4                               // 000000005328: 0AD8096C
	v_mul_f32_e32 v109, v109, v5                               // 00000000532C: 0ADA0B6D
	v_mul_f32_e32 v110, v110, v6                               // 000000005330: 0ADC0D6E
	v_mul_f32_e32 v111, v111, v7                               // 000000005334: 0ADE0F6F
	v_mul_f32_e32 v108, v108, v172                             // 000000005338: 0AD9596C
	v_mul_f32_e32 v109, v109, v173                             // 00000000533C: 0ADB5B6D
	v_mul_f32_e32 v110, v110, v174                             // 000000005340: 0ADD5D6E
	v_mul_f32_e32 v111, v111, v175                             // 000000005344: 0ADF5F6F
	v_pk_mul_f32 v[4:5], v[112:113], v[112:113]                // 000000005348: D3B14004 1802E170
	v_pk_mul_f32 v[6:7], v[114:115], v[114:115]                // 000000005350: D3B14006 1802E572
	v_pk_fma_f32 v[4:5], v[4:5], s[78:79], v[8:9]              // 000000005358: D3B04004 1C209D04
	v_pk_fma_f32 v[6:7], v[6:7], s[78:79], v[8:9]              // 000000005360: D3B04006 1C209D06
	v_pk_mul_f32 v[4:5], v[4:5], v[112:113]                    // 000000005368: D3B14004 1802E104
	v_pk_mul_f32 v[6:7], v[6:7], v[114:115]                    // 000000005370: D3B14006 1802E506
	v_pk_mul_f32 v[4:5], v[4:5], s[60:61]                      // 000000005378: D3B14004 18007904
	v_pk_mul_f32 v[6:7], v[6:7], s[60:61]                      // 000000005380: D3B14006 18007906
	v_exp_f32_e32 v4, v4                                       // 000000005388: 7E084104
	v_exp_f32_e32 v5, v5                                       // 00000000538C: 7E0A4105
	v_exp_f32_e32 v6, v6                                       // 000000005390: 7E0C4106
	v_exp_f32_e32 v7, v7                                       // 000000005394: 7E0E4107
	v_add_f32_e64 v4, v4, 1.0                                  // 000000005398: D1010004 0001E504
	v_add_f32_e64 v5, v5, 1.0                                  // 0000000053A0: D1010005 0001E505
	v_add_f32_e64 v6, v6, 1.0                                  // 0000000053A8: D1010006 0001E506
	v_add_f32_e64 v7, v7, 1.0                                  // 0000000053B0: D1010007 0001E507
	v_rcp_f32_e32 v4, v4                                       // 0000000053B8: 7E084504
	v_rcp_f32_e32 v5, v5                                       // 0000000053BC: 7E0A4505
	v_rcp_f32_e32 v6, v6                                       // 0000000053C0: 7E0C4506
	v_rcp_f32_e32 v7, v7                                       // 0000000053C4: 7E0E4507
	v_mul_f32_e32 v112, v112, v4                               // 0000000053C8: 0AE00970
	v_mul_f32_e32 v113, v113, v5                               // 0000000053CC: 0AE20B71
	v_mul_f32_e32 v114, v114, v6                               // 0000000053D0: 0AE40D72
	v_mul_f32_e32 v115, v115, v7                               // 0000000053D4: 0AE60F73
	v_mul_f32_e32 v112, v112, v176                             // 0000000053D8: 0AE16170
	v_mul_f32_e32 v113, v113, v177                             // 0000000053DC: 0AE36371
	v_mul_f32_e32 v114, v114, v178                             // 0000000053E0: 0AE56572
	v_mul_f32_e32 v115, v115, v179                             // 0000000053E4: 0AE76773
	v_pk_mul_f32 v[4:5], v[116:117], v[116:117]                // 0000000053E8: D3B14004 1802E974
	v_pk_mul_f32 v[6:7], v[118:119], v[118:119]                // 0000000053F0: D3B14006 1802ED76
	v_pk_fma_f32 v[4:5], v[4:5], s[78:79], v[8:9]              // 0000000053F8: D3B04004 1C209D04
	v_pk_fma_f32 v[6:7], v[6:7], s[78:79], v[8:9]              // 000000005400: D3B04006 1C209D06
	v_pk_mul_f32 v[4:5], v[4:5], v[116:117]                    // 000000005408: D3B14004 1802E904
	v_pk_mul_f32 v[6:7], v[6:7], v[118:119]                    // 000000005410: D3B14006 1802ED06
	v_pk_mul_f32 v[4:5], v[4:5], s[60:61]                      // 000000005418: D3B14004 18007904
	v_pk_mul_f32 v[6:7], v[6:7], s[60:61]                      // 000000005420: D3B14006 18007906
	v_exp_f32_e32 v4, v4                                       // 000000005428: 7E084104
	v_exp_f32_e32 v5, v5                                       // 00000000542C: 7E0A4105
	v_exp_f32_e32 v6, v6                                       // 000000005430: 7E0C4106
	v_exp_f32_e32 v7, v7                                       // 000000005434: 7E0E4107
	v_add_f32_e64 v4, v4, 1.0                                  // 000000005438: D1010004 0001E504
	v_add_f32_e64 v5, v5, 1.0                                  // 000000005440: D1010005 0001E505
	v_add_f32_e64 v6, v6, 1.0                                  // 000000005448: D1010006 0001E506
	v_add_f32_e64 v7, v7, 1.0                                  // 000000005450: D1010007 0001E507
	v_rcp_f32_e32 v4, v4                                       // 000000005458: 7E084504
	v_rcp_f32_e32 v5, v5                                       // 00000000545C: 7E0A4505
	v_rcp_f32_e32 v6, v6                                       // 000000005460: 7E0C4506
	v_rcp_f32_e32 v7, v7                                       // 000000005464: 7E0E4507
	v_mul_f32_e32 v116, v116, v4                               // 000000005468: 0AE80974
	v_mul_f32_e32 v117, v117, v5                               // 00000000546C: 0AEA0B75
	v_mul_f32_e32 v118, v118, v6                               // 000000005470: 0AEC0D76
	v_mul_f32_e32 v119, v119, v7                               // 000000005474: 0AEE0F77
	v_mul_f32_e32 v116, v116, v180                             // 000000005478: 0AE96974
	v_mul_f32_e32 v117, v117, v181                             // 00000000547C: 0AEB6B75
	v_mul_f32_e32 v118, v118, v182                             // 000000005480: 0AED6D76
	v_mul_f32_e32 v119, v119, v183                             // 000000005484: 0AEF6F77
	s_branch label_0CA3                                        // 000000005488: BF820200

000000000000548c <label_0AA3>:
	v_mul_f32_e64 v4, -v56, s6                                 // 00000000548C: D1050004 20000D38
	v_mul_f32_e64 v5, -v57, s6                                 // 000000005494: D1050005 20000D39
	v_mul_f32_e64 v6, -v58, s6                                 // 00000000549C: D1050006 20000D3A
	v_mul_f32_e64 v7, -v59, s6                                 // 0000000054A4: D1050007 20000D3B
	v_exp_f32_e32 v4, v4                                       // 0000000054AC: 7E084104
	v_exp_f32_e32 v5, v5                                       // 0000000054B0: 7E0A4105
	v_exp_f32_e32 v6, v6                                       // 0000000054B4: 7E0C4106
	v_exp_f32_e32 v7, v7                                       // 0000000054B8: 7E0E4107
	v_add_f32_e64 v4, v4, 1.0                                  // 0000000054BC: D1010004 0001E504
	v_add_f32_e64 v5, v5, 1.0                                  // 0000000054C4: D1010005 0001E505
	v_add_f32_e64 v6, v6, 1.0                                  // 0000000054CC: D1010006 0001E506
	v_add_f32_e64 v7, v7, 1.0                                  // 0000000054D4: D1010007 0001E507
	v_rcp_f32_e32 v4, v4                                       // 0000000054DC: 7E084504
	v_rcp_f32_e32 v5, v5                                       // 0000000054E0: 7E0A4505
	v_rcp_f32_e32 v6, v6                                       // 0000000054E4: 7E0C4506
	v_rcp_f32_e32 v7, v7                                       // 0000000054E8: 7E0E4507
	v_mul_f32_e32 v56, v56, v4                                 // 0000000054EC: 0A700938
	v_mul_f32_e32 v57, v57, v5                                 // 0000000054F0: 0A720B39
	v_mul_f32_e32 v58, v58, v6                                 // 0000000054F4: 0A740D3A
	v_mul_f32_e32 v59, v59, v7                                 // 0000000054F8: 0A760F3B
	v_mul_f32_e32 v56, v56, v120                               // 0000000054FC: 0A70F138
	v_mul_f32_e32 v57, v57, v121                               // 000000005500: 0A72F339
	v_mul_f32_e32 v58, v58, v122                               // 000000005504: 0A74F53A
	v_mul_f32_e32 v59, v59, v123                               // 000000005508: 0A76F73B
	v_mul_f32_e64 v4, -v60, s6                                 // 00000000550C: D1050004 20000D3C
	v_mul_f32_e64 v5, -v61, s6                                 // 000000005514: D1050005 20000D3D
	v_mul_f32_e64 v6, -v62, s6                                 // 00000000551C: D1050006 20000D3E
	v_mul_f32_e64 v7, -v63, s6                                 // 000000005524: D1050007 20000D3F
	v_exp_f32_e32 v4, v4                                       // 00000000552C: 7E084104
	v_exp_f32_e32 v5, v5                                       // 000000005530: 7E0A4105
	v_exp_f32_e32 v6, v6                                       // 000000005534: 7E0C4106
	v_exp_f32_e32 v7, v7                                       // 000000005538: 7E0E4107
	v_add_f32_e64 v4, v4, 1.0                                  // 00000000553C: D1010004 0001E504
	v_add_f32_e64 v5, v5, 1.0                                  // 000000005544: D1010005 0001E505
	v_add_f32_e64 v6, v6, 1.0                                  // 00000000554C: D1010006 0001E506
	v_add_f32_e64 v7, v7, 1.0                                  // 000000005554: D1010007 0001E507
	v_rcp_f32_e32 v4, v4                                       // 00000000555C: 7E084504
	v_rcp_f32_e32 v5, v5                                       // 000000005560: 7E0A4505
	v_rcp_f32_e32 v6, v6                                       // 000000005564: 7E0C4506
	v_rcp_f32_e32 v7, v7                                       // 000000005568: 7E0E4507
	v_mul_f32_e32 v60, v60, v4                                 // 00000000556C: 0A78093C
	v_mul_f32_e32 v61, v61, v5                                 // 000000005570: 0A7A0B3D
	v_mul_f32_e32 v62, v62, v6                                 // 000000005574: 0A7C0D3E
	v_mul_f32_e32 v63, v63, v7                                 // 000000005578: 0A7E0F3F
	v_mul_f32_e32 v60, v60, v124                               // 00000000557C: 0A78F93C
	v_mul_f32_e32 v61, v61, v125                               // 000000005580: 0A7AFB3D
	v_mul_f32_e32 v62, v62, v126                               // 000000005584: 0A7CFD3E
	v_mul_f32_e32 v63, v63, v127                               // 000000005588: 0A7EFF3F
	v_mul_f32_e64 v4, -v64, s6                                 // 00000000558C: D1050004 20000D40
	v_mul_f32_e64 v5, -v65, s6                                 // 000000005594: D1050005 20000D41
	v_mul_f32_e64 v6, -v66, s6                                 // 00000000559C: D1050006 20000D42
	v_mul_f32_e64 v7, -v67, s6                                 // 0000000055A4: D1050007 20000D43
	v_exp_f32_e32 v4, v4                                       // 0000000055AC: 7E084104
	v_exp_f32_e32 v5, v5                                       // 0000000055B0: 7E0A4105
	v_exp_f32_e32 v6, v6                                       // 0000000055B4: 7E0C4106
	v_exp_f32_e32 v7, v7                                       // 0000000055B8: 7E0E4107
	v_add_f32_e64 v4, v4, 1.0                                  // 0000000055BC: D1010004 0001E504
	v_add_f32_e64 v5, v5, 1.0                                  // 0000000055C4: D1010005 0001E505
	v_add_f32_e64 v6, v6, 1.0                                  // 0000000055CC: D1010006 0001E506
	v_add_f32_e64 v7, v7, 1.0                                  // 0000000055D4: D1010007 0001E507
	v_rcp_f32_e32 v4, v4                                       // 0000000055DC: 7E084504
	v_rcp_f32_e32 v5, v5                                       // 0000000055E0: 7E0A4505
	v_rcp_f32_e32 v6, v6                                       // 0000000055E4: 7E0C4506
	v_rcp_f32_e32 v7, v7                                       // 0000000055E8: 7E0E4507
	v_mul_f32_e32 v64, v64, v4                                 // 0000000055EC: 0A800940
	v_mul_f32_e32 v65, v65, v5                                 // 0000000055F0: 0A820B41
	v_mul_f32_e32 v66, v66, v6                                 // 0000000055F4: 0A840D42
	v_mul_f32_e32 v67, v67, v7                                 // 0000000055F8: 0A860F43
	v_mul_f32_e32 v64, v64, v128                               // 0000000055FC: 0A810140
	v_mul_f32_e32 v65, v65, v129                               // 000000005600: 0A830341
	v_mul_f32_e32 v66, v66, v130                               // 000000005604: 0A850542
	v_mul_f32_e32 v67, v67, v131                               // 000000005608: 0A870743
	v_mul_f32_e64 v4, -v68, s6                                 // 00000000560C: D1050004 20000D44
	v_mul_f32_e64 v5, -v69, s6                                 // 000000005614: D1050005 20000D45
	v_mul_f32_e64 v6, -v70, s6                                 // 00000000561C: D1050006 20000D46
	v_mul_f32_e64 v7, -v71, s6                                 // 000000005624: D1050007 20000D47
	v_exp_f32_e32 v4, v4                                       // 00000000562C: 7E084104
	v_exp_f32_e32 v5, v5                                       // 000000005630: 7E0A4105
	v_exp_f32_e32 v6, v6                                       // 000000005634: 7E0C4106
	v_exp_f32_e32 v7, v7                                       // 000000005638: 7E0E4107
	v_add_f32_e64 v4, v4, 1.0                                  // 00000000563C: D1010004 0001E504
	v_add_f32_e64 v5, v5, 1.0                                  // 000000005644: D1010005 0001E505
	v_add_f32_e64 v6, v6, 1.0                                  // 00000000564C: D1010006 0001E506
	v_add_f32_e64 v7, v7, 1.0                                  // 000000005654: D1010007 0001E507
	v_rcp_f32_e32 v4, v4                                       // 00000000565C: 7E084504
	v_rcp_f32_e32 v5, v5                                       // 000000005660: 7E0A4505
	v_rcp_f32_e32 v6, v6                                       // 000000005664: 7E0C4506
	v_rcp_f32_e32 v7, v7                                       // 000000005668: 7E0E4507
	v_mul_f32_e32 v68, v68, v4                                 // 00000000566C: 0A880944
	v_mul_f32_e32 v69, v69, v5                                 // 000000005670: 0A8A0B45
	v_mul_f32_e32 v70, v70, v6                                 // 000000005674: 0A8C0D46
	v_mul_f32_e32 v71, v71, v7                                 // 000000005678: 0A8E0F47
	v_mul_f32_e32 v68, v68, v132                               // 00000000567C: 0A890944
	v_mul_f32_e32 v69, v69, v133                               // 000000005680: 0A8B0B45
	v_mul_f32_e32 v70, v70, v134                               // 000000005684: 0A8D0D46
	v_mul_f32_e32 v71, v71, v135                               // 000000005688: 0A8F0F47
	v_mul_f32_e64 v4, -v72, s6                                 // 00000000568C: D1050004 20000D48
	v_mul_f32_e64 v5, -v73, s6                                 // 000000005694: D1050005 20000D49
	v_mul_f32_e64 v6, -v74, s6                                 // 00000000569C: D1050006 20000D4A
	v_mul_f32_e64 v7, -v75, s6                                 // 0000000056A4: D1050007 20000D4B
	v_exp_f32_e32 v4, v4                                       // 0000000056AC: 7E084104
	v_exp_f32_e32 v5, v5                                       // 0000000056B0: 7E0A4105
	v_exp_f32_e32 v6, v6                                       // 0000000056B4: 7E0C4106
	v_exp_f32_e32 v7, v7                                       // 0000000056B8: 7E0E4107
	v_add_f32_e64 v4, v4, 1.0                                  // 0000000056BC: D1010004 0001E504
	v_add_f32_e64 v5, v5, 1.0                                  // 0000000056C4: D1010005 0001E505
	v_add_f32_e64 v6, v6, 1.0                                  // 0000000056CC: D1010006 0001E506
	v_add_f32_e64 v7, v7, 1.0                                  // 0000000056D4: D1010007 0001E507
	v_rcp_f32_e32 v4, v4                                       // 0000000056DC: 7E084504
	v_rcp_f32_e32 v5, v5                                       // 0000000056E0: 7E0A4505
	v_rcp_f32_e32 v6, v6                                       // 0000000056E4: 7E0C4506
	v_rcp_f32_e32 v7, v7                                       // 0000000056E8: 7E0E4507
	v_mul_f32_e32 v72, v72, v4                                 // 0000000056EC: 0A900948
	v_mul_f32_e32 v73, v73, v5                                 // 0000000056F0: 0A920B49
	v_mul_f32_e32 v74, v74, v6                                 // 0000000056F4: 0A940D4A
	v_mul_f32_e32 v75, v75, v7                                 // 0000000056F8: 0A960F4B
	v_mul_f32_e32 v72, v72, v136                               // 0000000056FC: 0A911148
	v_mul_f32_e32 v73, v73, v137                               // 000000005700: 0A931349
	v_mul_f32_e32 v74, v74, v138                               // 000000005704: 0A95154A
	v_mul_f32_e32 v75, v75, v139                               // 000000005708: 0A97174B
	v_mul_f32_e64 v4, -v76, s6                                 // 00000000570C: D1050004 20000D4C
	v_mul_f32_e64 v5, -v77, s6                                 // 000000005714: D1050005 20000D4D
	v_mul_f32_e64 v6, -v78, s6                                 // 00000000571C: D1050006 20000D4E
	v_mul_f32_e64 v7, -v79, s6                                 // 000000005724: D1050007 20000D4F
	v_exp_f32_e32 v4, v4                                       // 00000000572C: 7E084104
	v_exp_f32_e32 v5, v5                                       // 000000005730: 7E0A4105
	v_exp_f32_e32 v6, v6                                       // 000000005734: 7E0C4106
	v_exp_f32_e32 v7, v7                                       // 000000005738: 7E0E4107
	v_add_f32_e64 v4, v4, 1.0                                  // 00000000573C: D1010004 0001E504
	v_add_f32_e64 v5, v5, 1.0                                  // 000000005744: D1010005 0001E505
	v_add_f32_e64 v6, v6, 1.0                                  // 00000000574C: D1010006 0001E506
	v_add_f32_e64 v7, v7, 1.0                                  // 000000005754: D1010007 0001E507
	v_rcp_f32_e32 v4, v4                                       // 00000000575C: 7E084504
	v_rcp_f32_e32 v5, v5                                       // 000000005760: 7E0A4505
	v_rcp_f32_e32 v6, v6                                       // 000000005764: 7E0C4506
	v_rcp_f32_e32 v7, v7                                       // 000000005768: 7E0E4507
	v_mul_f32_e32 v76, v76, v4                                 // 00000000576C: 0A98094C
	v_mul_f32_e32 v77, v77, v5                                 // 000000005770: 0A9A0B4D
	v_mul_f32_e32 v78, v78, v6                                 // 000000005774: 0A9C0D4E
	v_mul_f32_e32 v79, v79, v7                                 // 000000005778: 0A9E0F4F
	v_mul_f32_e32 v76, v76, v140                               // 00000000577C: 0A99194C
	v_mul_f32_e32 v77, v77, v141                               // 000000005780: 0A9B1B4D
	v_mul_f32_e32 v78, v78, v142                               // 000000005784: 0A9D1D4E
	v_mul_f32_e32 v79, v79, v143                               // 000000005788: 0A9F1F4F
	v_mul_f32_e64 v4, -v80, s6                                 // 00000000578C: D1050004 20000D50
	v_mul_f32_e64 v5, -v81, s6                                 // 000000005794: D1050005 20000D51
	v_mul_f32_e64 v6, -v82, s6                                 // 00000000579C: D1050006 20000D52
	v_mul_f32_e64 v7, -v83, s6                                 // 0000000057A4: D1050007 20000D53
	v_exp_f32_e32 v4, v4                                       // 0000000057AC: 7E084104
	v_exp_f32_e32 v5, v5                                       // 0000000057B0: 7E0A4105
	v_exp_f32_e32 v6, v6                                       // 0000000057B4: 7E0C4106
	v_exp_f32_e32 v7, v7                                       // 0000000057B8: 7E0E4107
	v_add_f32_e64 v4, v4, 1.0                                  // 0000000057BC: D1010004 0001E504
	v_add_f32_e64 v5, v5, 1.0                                  // 0000000057C4: D1010005 0001E505
	v_add_f32_e64 v6, v6, 1.0                                  // 0000000057CC: D1010006 0001E506
	v_add_f32_e64 v7, v7, 1.0                                  // 0000000057D4: D1010007 0001E507
	v_rcp_f32_e32 v4, v4                                       // 0000000057DC: 7E084504
	v_rcp_f32_e32 v5, v5                                       // 0000000057E0: 7E0A4505
	v_rcp_f32_e32 v6, v6                                       // 0000000057E4: 7E0C4506
	v_rcp_f32_e32 v7, v7                                       // 0000000057E8: 7E0E4507
	v_mul_f32_e32 v80, v80, v4                                 // 0000000057EC: 0AA00950
	v_mul_f32_e32 v81, v81, v5                                 // 0000000057F0: 0AA20B51
	v_mul_f32_e32 v82, v82, v6                                 // 0000000057F4: 0AA40D52
	v_mul_f32_e32 v83, v83, v7                                 // 0000000057F8: 0AA60F53
	v_mul_f32_e32 v80, v80, v144                               // 0000000057FC: 0AA12150
	v_mul_f32_e32 v81, v81, v145                               // 000000005800: 0AA32351
	v_mul_f32_e32 v82, v82, v146                               // 000000005804: 0AA52552
	v_mul_f32_e32 v83, v83, v147                               // 000000005808: 0AA72753
	v_mul_f32_e64 v4, -v84, s6                                 // 00000000580C: D1050004 20000D54
	v_mul_f32_e64 v5, -v85, s6                                 // 000000005814: D1050005 20000D55
	v_mul_f32_e64 v6, -v86, s6                                 // 00000000581C: D1050006 20000D56
	v_mul_f32_e64 v7, -v87, s6                                 // 000000005824: D1050007 20000D57
	v_exp_f32_e32 v4, v4                                       // 00000000582C: 7E084104
	v_exp_f32_e32 v5, v5                                       // 000000005830: 7E0A4105
	v_exp_f32_e32 v6, v6                                       // 000000005834: 7E0C4106
	v_exp_f32_e32 v7, v7                                       // 000000005838: 7E0E4107
	v_add_f32_e64 v4, v4, 1.0                                  // 00000000583C: D1010004 0001E504
	v_add_f32_e64 v5, v5, 1.0                                  // 000000005844: D1010005 0001E505
	v_add_f32_e64 v6, v6, 1.0                                  // 00000000584C: D1010006 0001E506
	v_add_f32_e64 v7, v7, 1.0                                  // 000000005854: D1010007 0001E507
	v_rcp_f32_e32 v4, v4                                       // 00000000585C: 7E084504
	v_rcp_f32_e32 v5, v5                                       // 000000005860: 7E0A4505
	v_rcp_f32_e32 v6, v6                                       // 000000005864: 7E0C4506
	v_rcp_f32_e32 v7, v7                                       // 000000005868: 7E0E4507
	v_mul_f32_e32 v84, v84, v4                                 // 00000000586C: 0AA80954
	v_mul_f32_e32 v85, v85, v5                                 // 000000005870: 0AAA0B55
	v_mul_f32_e32 v86, v86, v6                                 // 000000005874: 0AAC0D56
	v_mul_f32_e32 v87, v87, v7                                 // 000000005878: 0AAE0F57
	v_mul_f32_e32 v84, v84, v148                               // 00000000587C: 0AA92954
	v_mul_f32_e32 v85, v85, v149                               // 000000005880: 0AAB2B55
	v_mul_f32_e32 v86, v86, v150                               // 000000005884: 0AAD2D56
	v_mul_f32_e32 v87, v87, v151                               // 000000005888: 0AAF2F57
	v_mul_f32_e64 v4, -v88, s6                                 // 00000000588C: D1050004 20000D58
	v_mul_f32_e64 v5, -v89, s6                                 // 000000005894: D1050005 20000D59
	v_mul_f32_e64 v6, -v90, s6                                 // 00000000589C: D1050006 20000D5A
	v_mul_f32_e64 v7, -v91, s6                                 // 0000000058A4: D1050007 20000D5B
	v_exp_f32_e32 v4, v4                                       // 0000000058AC: 7E084104
	v_exp_f32_e32 v5, v5                                       // 0000000058B0: 7E0A4105
	v_exp_f32_e32 v6, v6                                       // 0000000058B4: 7E0C4106
	v_exp_f32_e32 v7, v7                                       // 0000000058B8: 7E0E4107
	v_add_f32_e64 v4, v4, 1.0                                  // 0000000058BC: D1010004 0001E504
	v_add_f32_e64 v5, v5, 1.0                                  // 0000000058C4: D1010005 0001E505
	v_add_f32_e64 v6, v6, 1.0                                  // 0000000058CC: D1010006 0001E506
	v_add_f32_e64 v7, v7, 1.0                                  // 0000000058D4: D1010007 0001E507
	v_rcp_f32_e32 v4, v4                                       // 0000000058DC: 7E084504
	v_rcp_f32_e32 v5, v5                                       // 0000000058E0: 7E0A4505
	v_rcp_f32_e32 v6, v6                                       // 0000000058E4: 7E0C4506
	v_rcp_f32_e32 v7, v7                                       // 0000000058E8: 7E0E4507
	v_mul_f32_e32 v88, v88, v4                                 // 0000000058EC: 0AB00958
	v_mul_f32_e32 v89, v89, v5                                 // 0000000058F0: 0AB20B59
	v_mul_f32_e32 v90, v90, v6                                 // 0000000058F4: 0AB40D5A
	v_mul_f32_e32 v91, v91, v7                                 // 0000000058F8: 0AB60F5B
	v_mul_f32_e32 v88, v88, v152                               // 0000000058FC: 0AB13158
	v_mul_f32_e32 v89, v89, v153                               // 000000005900: 0AB33359
	v_mul_f32_e32 v90, v90, v154                               // 000000005904: 0AB5355A
	v_mul_f32_e32 v91, v91, v155                               // 000000005908: 0AB7375B
	v_mul_f32_e64 v4, -v92, s6                                 // 00000000590C: D1050004 20000D5C
	v_mul_f32_e64 v5, -v93, s6                                 // 000000005914: D1050005 20000D5D
	v_mul_f32_e64 v6, -v94, s6                                 // 00000000591C: D1050006 20000D5E
	v_mul_f32_e64 v7, -v95, s6                                 // 000000005924: D1050007 20000D5F
	v_exp_f32_e32 v4, v4                                       // 00000000592C: 7E084104
	v_exp_f32_e32 v5, v5                                       // 000000005930: 7E0A4105
	v_exp_f32_e32 v6, v6                                       // 000000005934: 7E0C4106
	v_exp_f32_e32 v7, v7                                       // 000000005938: 7E0E4107
	v_add_f32_e64 v4, v4, 1.0                                  // 00000000593C: D1010004 0001E504
	v_add_f32_e64 v5, v5, 1.0                                  // 000000005944: D1010005 0001E505
	v_add_f32_e64 v6, v6, 1.0                                  // 00000000594C: D1010006 0001E506
	v_add_f32_e64 v7, v7, 1.0                                  // 000000005954: D1010007 0001E507
	v_rcp_f32_e32 v4, v4                                       // 00000000595C: 7E084504
	v_rcp_f32_e32 v5, v5                                       // 000000005960: 7E0A4505
	v_rcp_f32_e32 v6, v6                                       // 000000005964: 7E0C4506
	v_rcp_f32_e32 v7, v7                                       // 000000005968: 7E0E4507
	v_mul_f32_e32 v92, v92, v4                                 // 00000000596C: 0AB8095C
	v_mul_f32_e32 v93, v93, v5                                 // 000000005970: 0ABA0B5D
	v_mul_f32_e32 v94, v94, v6                                 // 000000005974: 0ABC0D5E
	v_mul_f32_e32 v95, v95, v7                                 // 000000005978: 0ABE0F5F
	v_mul_f32_e32 v92, v92, v156                               // 00000000597C: 0AB9395C
	v_mul_f32_e32 v93, v93, v157                               // 000000005980: 0ABB3B5D
	v_mul_f32_e32 v94, v94, v158                               // 000000005984: 0ABD3D5E
	v_mul_f32_e32 v95, v95, v159                               // 000000005988: 0ABF3F5F
	v_mul_f32_e64 v4, -v96, s6                                 // 00000000598C: D1050004 20000D60
	v_mul_f32_e64 v5, -v97, s6                                 // 000000005994: D1050005 20000D61
	v_mul_f32_e64 v6, -v98, s6                                 // 00000000599C: D1050006 20000D62
	v_mul_f32_e64 v7, -v99, s6                                 // 0000000059A4: D1050007 20000D63
	v_exp_f32_e32 v4, v4                                       // 0000000059AC: 7E084104
	v_exp_f32_e32 v5, v5                                       // 0000000059B0: 7E0A4105
	v_exp_f32_e32 v6, v6                                       // 0000000059B4: 7E0C4106
	v_exp_f32_e32 v7, v7                                       // 0000000059B8: 7E0E4107
	v_add_f32_e64 v4, v4, 1.0                                  // 0000000059BC: D1010004 0001E504
	v_add_f32_e64 v5, v5, 1.0                                  // 0000000059C4: D1010005 0001E505
	v_add_f32_e64 v6, v6, 1.0                                  // 0000000059CC: D1010006 0001E506
	v_add_f32_e64 v7, v7, 1.0                                  // 0000000059D4: D1010007 0001E507
	v_rcp_f32_e32 v4, v4                                       // 0000000059DC: 7E084504
	v_rcp_f32_e32 v5, v5                                       // 0000000059E0: 7E0A4505
	v_rcp_f32_e32 v6, v6                                       // 0000000059E4: 7E0C4506
	v_rcp_f32_e32 v7, v7                                       // 0000000059E8: 7E0E4507
	v_mul_f32_e32 v96, v96, v4                                 // 0000000059EC: 0AC00960
	v_mul_f32_e32 v97, v97, v5                                 // 0000000059F0: 0AC20B61
	v_mul_f32_e32 v98, v98, v6                                 // 0000000059F4: 0AC40D62
	v_mul_f32_e32 v99, v99, v7                                 // 0000000059F8: 0AC60F63
	v_mul_f32_e32 v96, v96, v160                               // 0000000059FC: 0AC14160
	v_mul_f32_e32 v97, v97, v161                               // 000000005A00: 0AC34361
	v_mul_f32_e32 v98, v98, v162                               // 000000005A04: 0AC54562
	v_mul_f32_e32 v99, v99, v163                               // 000000005A08: 0AC74763
	v_mul_f32_e64 v4, -v100, s6                                // 000000005A0C: D1050004 20000D64
	v_mul_f32_e64 v5, -v101, s6                                // 000000005A14: D1050005 20000D65
	v_mul_f32_e64 v6, -v102, s6                                // 000000005A1C: D1050006 20000D66
	v_mul_f32_e64 v7, -v103, s6                                // 000000005A24: D1050007 20000D67
	v_exp_f32_e32 v4, v4                                       // 000000005A2C: 7E084104
	v_exp_f32_e32 v5, v5                                       // 000000005A30: 7E0A4105
	v_exp_f32_e32 v6, v6                                       // 000000005A34: 7E0C4106
	v_exp_f32_e32 v7, v7                                       // 000000005A38: 7E0E4107
	v_add_f32_e64 v4, v4, 1.0                                  // 000000005A3C: D1010004 0001E504
	v_add_f32_e64 v5, v5, 1.0                                  // 000000005A44: D1010005 0001E505
	v_add_f32_e64 v6, v6, 1.0                                  // 000000005A4C: D1010006 0001E506
	v_add_f32_e64 v7, v7, 1.0                                  // 000000005A54: D1010007 0001E507
	v_rcp_f32_e32 v4, v4                                       // 000000005A5C: 7E084504
	v_rcp_f32_e32 v5, v5                                       // 000000005A60: 7E0A4505
	v_rcp_f32_e32 v6, v6                                       // 000000005A64: 7E0C4506
	v_rcp_f32_e32 v7, v7                                       // 000000005A68: 7E0E4507
	v_mul_f32_e32 v100, v100, v4                               // 000000005A6C: 0AC80964
	v_mul_f32_e32 v101, v101, v5                               // 000000005A70: 0ACA0B65
	v_mul_f32_e32 v102, v102, v6                               // 000000005A74: 0ACC0D66
	v_mul_f32_e32 v103, v103, v7                               // 000000005A78: 0ACE0F67
	v_mul_f32_e32 v100, v100, v164                             // 000000005A7C: 0AC94964
	v_mul_f32_e32 v101, v101, v165                             // 000000005A80: 0ACB4B65
	v_mul_f32_e32 v102, v102, v166                             // 000000005A84: 0ACD4D66
	v_mul_f32_e32 v103, v103, v167                             // 000000005A88: 0ACF4F67
	v_mul_f32_e64 v4, -v104, s6                                // 000000005A8C: D1050004 20000D68
	v_mul_f32_e64 v5, -v105, s6                                // 000000005A94: D1050005 20000D69
	v_mul_f32_e64 v6, -v106, s6                                // 000000005A9C: D1050006 20000D6A
	v_mul_f32_e64 v7, -v107, s6                                // 000000005AA4: D1050007 20000D6B
	v_exp_f32_e32 v4, v4                                       // 000000005AAC: 7E084104
	v_exp_f32_e32 v5, v5                                       // 000000005AB0: 7E0A4105
	v_exp_f32_e32 v6, v6                                       // 000000005AB4: 7E0C4106
	v_exp_f32_e32 v7, v7                                       // 000000005AB8: 7E0E4107
	v_add_f32_e64 v4, v4, 1.0                                  // 000000005ABC: D1010004 0001E504
	v_add_f32_e64 v5, v5, 1.0                                  // 000000005AC4: D1010005 0001E505
	v_add_f32_e64 v6, v6, 1.0                                  // 000000005ACC: D1010006 0001E506
	v_add_f32_e64 v7, v7, 1.0                                  // 000000005AD4: D1010007 0001E507
	v_rcp_f32_e32 v4, v4                                       // 000000005ADC: 7E084504
	v_rcp_f32_e32 v5, v5                                       // 000000005AE0: 7E0A4505
	v_rcp_f32_e32 v6, v6                                       // 000000005AE4: 7E0C4506
	v_rcp_f32_e32 v7, v7                                       // 000000005AE8: 7E0E4507
	v_mul_f32_e32 v104, v104, v4                               // 000000005AEC: 0AD00968
	v_mul_f32_e32 v105, v105, v5                               // 000000005AF0: 0AD20B69
	v_mul_f32_e32 v106, v106, v6                               // 000000005AF4: 0AD40D6A
	v_mul_f32_e32 v107, v107, v7                               // 000000005AF8: 0AD60F6B
	v_mul_f32_e32 v104, v104, v168                             // 000000005AFC: 0AD15168
	v_mul_f32_e32 v105, v105, v169                             // 000000005B00: 0AD35369
	v_mul_f32_e32 v106, v106, v170                             // 000000005B04: 0AD5556A
	v_mul_f32_e32 v107, v107, v171                             // 000000005B08: 0AD7576B
	v_mul_f32_e64 v4, -v108, s6                                // 000000005B0C: D1050004 20000D6C
	v_mul_f32_e64 v5, -v109, s6                                // 000000005B14: D1050005 20000D6D
	v_mul_f32_e64 v6, -v110, s6                                // 000000005B1C: D1050006 20000D6E
	v_mul_f32_e64 v7, -v111, s6                                // 000000005B24: D1050007 20000D6F
	v_exp_f32_e32 v4, v4                                       // 000000005B2C: 7E084104
	v_exp_f32_e32 v5, v5                                       // 000000005B30: 7E0A4105
	v_exp_f32_e32 v6, v6                                       // 000000005B34: 7E0C4106
	v_exp_f32_e32 v7, v7                                       // 000000005B38: 7E0E4107
	v_add_f32_e64 v4, v4, 1.0                                  // 000000005B3C: D1010004 0001E504
	v_add_f32_e64 v5, v5, 1.0                                  // 000000005B44: D1010005 0001E505
	v_add_f32_e64 v6, v6, 1.0                                  // 000000005B4C: D1010006 0001E506
	v_add_f32_e64 v7, v7, 1.0                                  // 000000005B54: D1010007 0001E507
	v_rcp_f32_e32 v4, v4                                       // 000000005B5C: 7E084504
	v_rcp_f32_e32 v5, v5                                       // 000000005B60: 7E0A4505
	v_rcp_f32_e32 v6, v6                                       // 000000005B64: 7E0C4506
	v_rcp_f32_e32 v7, v7                                       // 000000005B68: 7E0E4507
	v_mul_f32_e32 v108, v108, v4                               // 000000005B6C: 0AD8096C
	v_mul_f32_e32 v109, v109, v5                               // 000000005B70: 0ADA0B6D
	v_mul_f32_e32 v110, v110, v6                               // 000000005B74: 0ADC0D6E
	v_mul_f32_e32 v111, v111, v7                               // 000000005B78: 0ADE0F6F
	v_mul_f32_e32 v108, v108, v172                             // 000000005B7C: 0AD9596C
	v_mul_f32_e32 v109, v109, v173                             // 000000005B80: 0ADB5B6D
	v_mul_f32_e32 v110, v110, v174                             // 000000005B84: 0ADD5D6E
	v_mul_f32_e32 v111, v111, v175                             // 000000005B88: 0ADF5F6F
	v_mul_f32_e64 v4, -v112, s6                                // 000000005B8C: D1050004 20000D70
	v_mul_f32_e64 v5, -v113, s6                                // 000000005B94: D1050005 20000D71
	v_mul_f32_e64 v6, -v114, s6                                // 000000005B9C: D1050006 20000D72
	v_mul_f32_e64 v7, -v115, s6                                // 000000005BA4: D1050007 20000D73
	v_exp_f32_e32 v4, v4                                       // 000000005BAC: 7E084104
	v_exp_f32_e32 v5, v5                                       // 000000005BB0: 7E0A4105
	v_exp_f32_e32 v6, v6                                       // 000000005BB4: 7E0C4106
	v_exp_f32_e32 v7, v7                                       // 000000005BB8: 7E0E4107
	v_add_f32_e64 v4, v4, 1.0                                  // 000000005BBC: D1010004 0001E504
	v_add_f32_e64 v5, v5, 1.0                                  // 000000005BC4: D1010005 0001E505
	v_add_f32_e64 v6, v6, 1.0                                  // 000000005BCC: D1010006 0001E506
	v_add_f32_e64 v7, v7, 1.0                                  // 000000005BD4: D1010007 0001E507
	v_rcp_f32_e32 v4, v4                                       // 000000005BDC: 7E084504
	v_rcp_f32_e32 v5, v5                                       // 000000005BE0: 7E0A4505
	v_rcp_f32_e32 v6, v6                                       // 000000005BE4: 7E0C4506
	v_rcp_f32_e32 v7, v7                                       // 000000005BE8: 7E0E4507
	v_mul_f32_e32 v112, v112, v4                               // 000000005BEC: 0AE00970
	v_mul_f32_e32 v113, v113, v5                               // 000000005BF0: 0AE20B71
	v_mul_f32_e32 v114, v114, v6                               // 000000005BF4: 0AE40D72
	v_mul_f32_e32 v115, v115, v7                               // 000000005BF8: 0AE60F73
	v_mul_f32_e32 v112, v112, v176                             // 000000005BFC: 0AE16170
	v_mul_f32_e32 v113, v113, v177                             // 000000005C00: 0AE36371
	v_mul_f32_e32 v114, v114, v178                             // 000000005C04: 0AE56572
	v_mul_f32_e32 v115, v115, v179                             // 000000005C08: 0AE76773
	v_mul_f32_e64 v4, -v116, s6                                // 000000005C0C: D1050004 20000D74
	v_mul_f32_e64 v5, -v117, s6                                // 000000005C14: D1050005 20000D75
	v_mul_f32_e64 v6, -v118, s6                                // 000000005C1C: D1050006 20000D76
	v_mul_f32_e64 v7, -v119, s6                                // 000000005C24: D1050007 20000D77
	v_exp_f32_e32 v4, v4                                       // 000000005C2C: 7E084104
	v_exp_f32_e32 v5, v5                                       // 000000005C30: 7E0A4105
	v_exp_f32_e32 v6, v6                                       // 000000005C34: 7E0C4106
	v_exp_f32_e32 v7, v7                                       // 000000005C38: 7E0E4107
	v_add_f32_e64 v4, v4, 1.0                                  // 000000005C3C: D1010004 0001E504
	v_add_f32_e64 v5, v5, 1.0                                  // 000000005C44: D1010005 0001E505
	v_add_f32_e64 v6, v6, 1.0                                  // 000000005C4C: D1010006 0001E506
	v_add_f32_e64 v7, v7, 1.0                                  // 000000005C54: D1010007 0001E507
	v_rcp_f32_e32 v4, v4                                       // 000000005C5C: 7E084504
	v_rcp_f32_e32 v5, v5                                       // 000000005C60: 7E0A4505
	v_rcp_f32_e32 v6, v6                                       // 000000005C64: 7E0C4506
	v_rcp_f32_e32 v7, v7                                       // 000000005C68: 7E0E4507
	v_mul_f32_e32 v116, v116, v4                               // 000000005C6C: 0AE80974
	v_mul_f32_e32 v117, v117, v5                               // 000000005C70: 0AEA0B75
	v_mul_f32_e32 v118, v118, v6                               // 000000005C74: 0AEC0D76
	v_mul_f32_e32 v119, v119, v7                               // 000000005C78: 0AEE0F77
	v_mul_f32_e32 v116, v116, v180                             // 000000005C7C: 0AE96974
	v_mul_f32_e32 v117, v117, v181                             // 000000005C80: 0AEB6B75
	v_mul_f32_e32 v118, v118, v182                             // 000000005C84: 0AED6D76
	v_mul_f32_e32 v119, v119, v183                             // 000000005C88: 0AEF6F77

0000000000005c8c <label_0CA3>:
	s_cmp_eq_u32 s7, 0                                         // 000000005C8C: BF068007
	s_cbranch_scc0 label_0CB3                                  // 000000005C90: BF84000E
	v_and_b32_e32 v4, 15, v0                                   // 000000005C94: 2608008F
	v_lshlrev_b32_e32 v4, 2, v4                                // 000000005C98: 24080882
	buffer_load_dword v28, v4, s[12:15], 0 offen               // 000000005C9C: E0501000 80031C04
	v_add_u32_e32 v4, 64, v4                                   // 000000005CA4: 680808C0
	buffer_load_dword v29, v4, s[12:15], 0 offen               // 000000005CA8: E0501000 80031D04
	v_add_u32_e32 v4, 64, v4                                   // 000000005CB0: 680808C0
	buffer_load_dword v30, v4, s[12:15], 0 offen               // 000000005CB4: E0501000 80031E04
	v_add_u32_e32 v4, 64, v4                                   // 000000005CBC: 680808C0
	buffer_load_dword v31, v4, s[12:15], 0 offen               // 000000005CC0: E0501000 80031F04
	v_add_u32_e32 v4, 64, v4                                   // 000000005CC8: 680808C0

0000000000005ccc <label_0CB3>:
	v_lshlrev_b32_e32 v4, 2, v0                                // 000000005CCC: 24080082
	s_mul_i32 s60, 0x100, s7                                   // 000000005CD0: 923C07FF 00000100
	v_add_u32_e32 v128, s60, v4                                // 000000005CD8: 6900083C
	v_and_b32_e32 v4, 15, v0                                   // 000000005CDC: 2608008F
	v_lshlrev_b32_e32 v129, 2, v4                              // 000000005CE0: 25020882
	s_waitcnt lgkmcnt(0)                                       // 000000005CE4: BF8CC07F
	s_barrier                                                  // 000000005CE8: BF8A0000
	v_mov_b32_e32 v120, 0x358637bd                             // 000000005CEC: 7EF002FF 358637BD
	v_max3_f32 v120, |v56|, |v57|, v120                        // 000000005CF4: D1D30378 05E27338
	v_max3_f32 v120, |v58|, |v59|, v120                        // 000000005CFC: D1D30378 05E2773A
	v_max3_f32 v120, |v72|, |v73|, v120                        // 000000005D04: D1D30378 05E29348
	v_max3_f32 v120, |v74|, |v75|, v120                        // 000000005D0C: D1D30378 05E2974A
	ds_write_b32 v128, v120                                    // 000000005D14: D81A0000 00007880
	s_waitcnt lgkmcnt(0)                                       // 000000005D1C: BF8CC07F
	s_barrier                                                  // 000000005D20: BF8A0000
	ds_read_b32 v4, v129                                       // 000000005D24: D86C0000 04000081
	ds_read_b32 v5, v129 offset:64                             // 000000005D2C: D86C0040 05000081
	ds_read_b32 v6, v129 offset:128                            // 000000005D34: D86C0080 06000081
	ds_read_b32 v7, v129 offset:192                            // 000000005D3C: D86C00C0 07000081
	ds_read_b32 v8, v129 offset:256                            // 000000005D44: D86C0100 08000081
	ds_read_b32 v9, v129 offset:320                            // 000000005D4C: D86C0140 09000081
	ds_read_b32 v10, v129 offset:384                           // 000000005D54: D86C0180 0A000081
	ds_read_b32 v11, v129 offset:448                           // 000000005D5C: D86C01C0 0B000081
	ds_read_b32 v12, v129 offset:512                           // 000000005D64: D86C0200 0C000081
	ds_read_b32 v13, v129 offset:576                           // 000000005D6C: D86C0240 0D000081
	ds_read_b32 v14, v129 offset:640                           // 000000005D74: D86C0280 0E000081
	ds_read_b32 v15, v129 offset:704                           // 000000005D7C: D86C02C0 0F000081
	ds_read_b32 v16, v129 offset:768                           // 000000005D84: D86C0300 10000081
	ds_read_b32 v17, v129 offset:832                           // 000000005D8C: D86C0340 11000081
	ds_read_b32 v18, v129 offset:896                           // 000000005D94: D86C0380 12000081
	ds_read_b32 v19, v129 offset:960                           // 000000005D9C: D86C03C0 13000081
	s_waitcnt lgkmcnt(0)                                       // 000000005DA4: BF8CC07F
	s_barrier                                                  // 000000005DA8: BF8A0000
	v_max3_f32 v120, |v4|, |v5|, v120                          // 000000005DAC: D1D30378 05E20B04
	v_max3_f32 v120, |v6|, |v7|, v120                          // 000000005DB4: D1D30378 05E20F06
	v_max3_f32 v120, |v8|, |v9|, v120                          // 000000005DBC: D1D30378 05E21308
	v_max3_f32 v120, |v10|, |v11|, v120                        // 000000005DC4: D1D30378 05E2170A
	v_max3_f32 v120, |v12|, |v13|, v120                        // 000000005DCC: D1D30378 05E21B0C
	v_max3_f32 v120, |v14|, |v15|, v120                        // 000000005DD4: D1D30378 05E21F0E
	v_max3_f32 v120, |v16|, |v17|, v120                        // 000000005DDC: D1D30378 05E22310
	v_max3_f32 v120, |v18|, |v19|, v120                        // 000000005DE4: D1D30378 05E22712
	v_rcp_f32_e32 v120, v120                                   // 000000005DEC: 7EF04578
	v_mov_b32_e32 v4, 0x43700000                               // 000000005DF0: 7E0802FF 43700000
	v_mul_f32_e32 v120, v4, v120                               // 000000005DF8: 0AF0F104
	v_mov_b32_e32 v4, v120                                     // 000000005DFC: 7E080378
	v_mov_b32_e32 v5, v4                                       // 000000005E00: 7E0A0304
	v_pk_mul_f32 v[56:57], v[4:5], v[56:57]                    // 000000005E04: D3B14038 18027104
	v_pk_mul_f32 v[58:59], v[4:5], v[58:59]                    // 000000005E0C: D3B1403A 18027504
	v_cvt_pk_fp8_f32 v56, v56, v57                             // 000000005E14: D2A20038 00027338
	v_cvt_pk_fp8_f32 v56, v58, v59 op_sel:[0,0,1]              // 000000005E1C: D2A24038 0002773A
	v_pk_mul_f32 v[72:73], v[4:5], v[72:73]                    // 000000005E24: D3B14048 18029104
	v_pk_mul_f32 v[74:75], v[4:5], v[74:75]                    // 000000005E2C: D3B1404A 18029504
	v_cvt_pk_fp8_f32 v72, v72, v73                             // 000000005E34: D2A20048 00029348
	v_cvt_pk_fp8_f32 v72, v74, v75 op_sel:[0,0,1]              // 000000005E3C: D2A24048 0002974A
	v_rcp_f32_e32 v120, v120                                   // 000000005E44: 7EF04578
	v_mov_b32_e32 v124, 0x358637bd                             // 000000005E48: 7EF802FF 358637BD
	v_max3_f32 v124, |v88|, |v89|, v124                        // 000000005E50: D1D3037C 05F2B358
	v_max3_f32 v124, |v90|, |v91|, v124                        // 000000005E58: D1D3037C 05F2B75A
	v_max3_f32 v124, |v104|, |v105|, v124                      // 000000005E60: D1D3037C 05F2D368
	v_max3_f32 v124, |v106|, |v107|, v124                      // 000000005E68: D1D3037C 05F2D76A
	ds_write_b32 v128, v124                                    // 000000005E70: D81A0000 00007C80
	s_waitcnt lgkmcnt(0)                                       // 000000005E78: BF8CC07F
	s_barrier                                                  // 000000005E7C: BF8A0000
	ds_read_b32 v4, v129                                       // 000000005E80: D86C0000 04000081
	ds_read_b32 v5, v129 offset:64                             // 000000005E88: D86C0040 05000081
	ds_read_b32 v6, v129 offset:128                            // 000000005E90: D86C0080 06000081
	ds_read_b32 v7, v129 offset:192                            // 000000005E98: D86C00C0 07000081
	ds_read_b32 v8, v129 offset:256                            // 000000005EA0: D86C0100 08000081
	ds_read_b32 v9, v129 offset:320                            // 000000005EA8: D86C0140 09000081
	ds_read_b32 v10, v129 offset:384                           // 000000005EB0: D86C0180 0A000081
	ds_read_b32 v11, v129 offset:448                           // 000000005EB8: D86C01C0 0B000081
	ds_read_b32 v12, v129 offset:512                           // 000000005EC0: D86C0200 0C000081
	ds_read_b32 v13, v129 offset:576                           // 000000005EC8: D86C0240 0D000081
	ds_read_b32 v14, v129 offset:640                           // 000000005ED0: D86C0280 0E000081
	ds_read_b32 v15, v129 offset:704                           // 000000005ED8: D86C02C0 0F000081
	ds_read_b32 v16, v129 offset:768                           // 000000005EE0: D86C0300 10000081
	ds_read_b32 v17, v129 offset:832                           // 000000005EE8: D86C0340 11000081
	ds_read_b32 v18, v129 offset:896                           // 000000005EF0: D86C0380 12000081
	ds_read_b32 v19, v129 offset:960                           // 000000005EF8: D86C03C0 13000081
	s_waitcnt lgkmcnt(0)                                       // 000000005F00: BF8CC07F
	s_barrier                                                  // 000000005F04: BF8A0000
	v_max3_f32 v124, |v4|, |v5|, v124                          // 000000005F08: D1D3037C 05F20B04
	v_max3_f32 v124, |v6|, |v7|, v124                          // 000000005F10: D1D3037C 05F20F06
	v_max3_f32 v124, |v8|, |v9|, v124                          // 000000005F18: D1D3037C 05F21308
	v_max3_f32 v124, |v10|, |v11|, v124                        // 000000005F20: D1D3037C 05F2170A
	v_max3_f32 v124, |v12|, |v13|, v124                        // 000000005F28: D1D3037C 05F21B0C
	v_max3_f32 v124, |v14|, |v15|, v124                        // 000000005F30: D1D3037C 05F21F0E
	v_max3_f32 v124, |v16|, |v17|, v124                        // 000000005F38: D1D3037C 05F22310
	v_max3_f32 v124, |v18|, |v19|, v124                        // 000000005F40: D1D3037C 05F22712
	v_rcp_f32_e32 v124, v124                                   // 000000005F48: 7EF8457C
	v_mov_b32_e32 v4, 0x43700000                               // 000000005F4C: 7E0802FF 43700000
	v_mul_f32_e32 v124, v4, v124                               // 000000005F54: 0AF8F904
	v_mov_b32_e32 v4, v124                                     // 000000005F58: 7E08037C
	v_mov_b32_e32 v5, v4                                       // 000000005F5C: 7E0A0304
	v_pk_mul_f32 v[88:89], v[4:5], v[88:89]                    // 000000005F60: D3B14058 1802B104
	v_pk_mul_f32 v[90:91], v[4:5], v[90:91]                    // 000000005F68: D3B1405A 1802B504
	v_cvt_pk_fp8_f32 v88, v88, v89                             // 000000005F70: D2A20058 0002B358
	v_cvt_pk_fp8_f32 v88, v90, v91 op_sel:[0,0,1]              // 000000005F78: D2A24058 0002B75A
	v_pk_mul_f32 v[104:105], v[4:5], v[104:105]                // 000000005F80: D3B14068 1802D104
	v_pk_mul_f32 v[106:107], v[4:5], v[106:107]                // 000000005F88: D3B1406A 1802D504
	v_cvt_pk_fp8_f32 v104, v104, v105                          // 000000005F90: D2A20068 0002D368
	v_cvt_pk_fp8_f32 v104, v106, v107 op_sel:[0,0,1]           // 000000005F98: D2A24068 0002D76A
	v_rcp_f32_e32 v124, v124                                   // 000000005FA0: 7EF8457C
	v_mov_b32_e32 v121, 0x358637bd                             // 000000005FA4: 7EF202FF 358637BD
	v_max3_f32 v121, |v60|, |v61|, v121                        // 000000005FAC: D1D30379 05E67B3C
	v_max3_f32 v121, |v62|, |v63|, v121                        // 000000005FB4: D1D30379 05E67F3E
	v_max3_f32 v121, |v76|, |v77|, v121                        // 000000005FBC: D1D30379 05E69B4C
	v_max3_f32 v121, |v78|, |v79|, v121                        // 000000005FC4: D1D30379 05E69F4E
	ds_write_b32 v128, v121                                    // 000000005FCC: D81A0000 00007980
	s_waitcnt lgkmcnt(0)                                       // 000000005FD4: BF8CC07F
	s_barrier                                                  // 000000005FD8: BF8A0000
	ds_read_b32 v4, v129                                       // 000000005FDC: D86C0000 04000081
	ds_read_b32 v5, v129 offset:64                             // 000000005FE4: D86C0040 05000081
	ds_read_b32 v6, v129 offset:128                            // 000000005FEC: D86C0080 06000081
	ds_read_b32 v7, v129 offset:192                            // 000000005FF4: D86C00C0 07000081
	ds_read_b32 v8, v129 offset:256                            // 000000005FFC: D86C0100 08000081
	ds_read_b32 v9, v129 offset:320                            // 000000006004: D86C0140 09000081
	ds_read_b32 v10, v129 offset:384                           // 00000000600C: D86C0180 0A000081
	ds_read_b32 v11, v129 offset:448                           // 000000006014: D86C01C0 0B000081
	ds_read_b32 v12, v129 offset:512                           // 00000000601C: D86C0200 0C000081
	ds_read_b32 v13, v129 offset:576                           // 000000006024: D86C0240 0D000081
	ds_read_b32 v14, v129 offset:640                           // 00000000602C: D86C0280 0E000081
	ds_read_b32 v15, v129 offset:704                           // 000000006034: D86C02C0 0F000081
	ds_read_b32 v16, v129 offset:768                           // 00000000603C: D86C0300 10000081
	ds_read_b32 v17, v129 offset:832                           // 000000006044: D86C0340 11000081
	ds_read_b32 v18, v129 offset:896                           // 00000000604C: D86C0380 12000081
	ds_read_b32 v19, v129 offset:960                           // 000000006054: D86C03C0 13000081
	s_waitcnt lgkmcnt(0)                                       // 00000000605C: BF8CC07F
	s_barrier                                                  // 000000006060: BF8A0000
	v_max3_f32 v121, |v4|, |v5|, v121                          // 000000006064: D1D30379 05E60B04
	v_max3_f32 v121, |v6|, |v7|, v121                          // 00000000606C: D1D30379 05E60F06
	v_max3_f32 v121, |v8|, |v9|, v121                          // 000000006074: D1D30379 05E61308
	v_max3_f32 v121, |v10|, |v11|, v121                        // 00000000607C: D1D30379 05E6170A
	v_max3_f32 v121, |v12|, |v13|, v121                        // 000000006084: D1D30379 05E61B0C
	v_max3_f32 v121, |v14|, |v15|, v121                        // 00000000608C: D1D30379 05E61F0E
	v_max3_f32 v121, |v16|, |v17|, v121                        // 000000006094: D1D30379 05E62310
	v_max3_f32 v121, |v18|, |v19|, v121                        // 00000000609C: D1D30379 05E62712
	v_rcp_f32_e32 v121, v121                                   // 0000000060A4: 7EF24579
	v_mov_b32_e32 v4, 0x43700000                               // 0000000060A8: 7E0802FF 43700000
	v_mul_f32_e32 v121, v4, v121                               // 0000000060B0: 0AF2F304
	v_mov_b32_e32 v4, v121                                     // 0000000060B4: 7E080379
	v_mov_b32_e32 v5, v4                                       // 0000000060B8: 7E0A0304
	v_pk_mul_f32 v[60:61], v[4:5], v[60:61]                    // 0000000060BC: D3B1403C 18027904
	v_pk_mul_f32 v[62:63], v[4:5], v[62:63]                    // 0000000060C4: D3B1403E 18027D04
	v_cvt_pk_fp8_f32 v60, v60, v61                             // 0000000060CC: D2A2003C 00027B3C
	v_cvt_pk_fp8_f32 v60, v62, v63 op_sel:[0,0,1]              // 0000000060D4: D2A2403C 00027F3E
	v_pk_mul_f32 v[76:77], v[4:5], v[76:77]                    // 0000000060DC: D3B1404C 18029904
	v_pk_mul_f32 v[78:79], v[4:5], v[78:79]                    // 0000000060E4: D3B1404E 18029D04
	v_cvt_pk_fp8_f32 v76, v76, v77                             // 0000000060EC: D2A2004C 00029B4C
	v_cvt_pk_fp8_f32 v76, v78, v79 op_sel:[0,0,1]              // 0000000060F4: D2A2404C 00029F4E
	v_rcp_f32_e32 v121, v121                                   // 0000000060FC: 7EF24579
	v_mov_b32_e32 v125, 0x358637bd                             // 000000006100: 7EFA02FF 358637BD
	v_max3_f32 v125, |v92|, |v93|, v125                        // 000000006108: D1D3037D 05F6BB5C
	v_max3_f32 v125, |v94|, |v95|, v125                        // 000000006110: D1D3037D 05F6BF5E
	v_max3_f32 v125, |v108|, |v109|, v125                      // 000000006118: D1D3037D 05F6DB6C
	v_max3_f32 v125, |v110|, |v111|, v125                      // 000000006120: D1D3037D 05F6DF6E
	ds_write_b32 v128, v125                                    // 000000006128: D81A0000 00007D80
	s_waitcnt lgkmcnt(0)                                       // 000000006130: BF8CC07F
	s_barrier                                                  // 000000006134: BF8A0000
	ds_read_b32 v4, v129                                       // 000000006138: D86C0000 04000081
	ds_read_b32 v5, v129 offset:64                             // 000000006140: D86C0040 05000081
	ds_read_b32 v6, v129 offset:128                            // 000000006148: D86C0080 06000081
	ds_read_b32 v7, v129 offset:192                            // 000000006150: D86C00C0 07000081
	ds_read_b32 v8, v129 offset:256                            // 000000006158: D86C0100 08000081
	ds_read_b32 v9, v129 offset:320                            // 000000006160: D86C0140 09000081
	ds_read_b32 v10, v129 offset:384                           // 000000006168: D86C0180 0A000081
	ds_read_b32 v11, v129 offset:448                           // 000000006170: D86C01C0 0B000081
	ds_read_b32 v12, v129 offset:512                           // 000000006178: D86C0200 0C000081
	ds_read_b32 v13, v129 offset:576                           // 000000006180: D86C0240 0D000081
	ds_read_b32 v14, v129 offset:640                           // 000000006188: D86C0280 0E000081
	ds_read_b32 v15, v129 offset:704                           // 000000006190: D86C02C0 0F000081
	ds_read_b32 v16, v129 offset:768                           // 000000006198: D86C0300 10000081
	ds_read_b32 v17, v129 offset:832                           // 0000000061A0: D86C0340 11000081
	ds_read_b32 v18, v129 offset:896                           // 0000000061A8: D86C0380 12000081
	ds_read_b32 v19, v129 offset:960                           // 0000000061B0: D86C03C0 13000081
	s_waitcnt lgkmcnt(0)                                       // 0000000061B8: BF8CC07F
	s_barrier                                                  // 0000000061BC: BF8A0000
	v_max3_f32 v125, |v4|, |v5|, v125                          // 0000000061C0: D1D3037D 05F60B04
	v_max3_f32 v125, |v6|, |v7|, v125                          // 0000000061C8: D1D3037D 05F60F06
	v_max3_f32 v125, |v8|, |v9|, v125                          // 0000000061D0: D1D3037D 05F61308
	v_max3_f32 v125, |v10|, |v11|, v125                        // 0000000061D8: D1D3037D 05F6170A
	v_max3_f32 v125, |v12|, |v13|, v125                        // 0000000061E0: D1D3037D 05F61B0C
	v_max3_f32 v125, |v14|, |v15|, v125                        // 0000000061E8: D1D3037D 05F61F0E
	v_max3_f32 v125, |v16|, |v17|, v125                        // 0000000061F0: D1D3037D 05F62310
	v_max3_f32 v125, |v18|, |v19|, v125                        // 0000000061F8: D1D3037D 05F62712
	v_rcp_f32_e32 v125, v125                                   // 000000006200: 7EFA457D
	v_mov_b32_e32 v4, 0x43700000                               // 000000006204: 7E0802FF 43700000
	v_mul_f32_e32 v125, v4, v125                               // 00000000620C: 0AFAFB04
	v_mov_b32_e32 v4, v125                                     // 000000006210: 7E08037D
	v_mov_b32_e32 v5, v4                                       // 000000006214: 7E0A0304
	v_pk_mul_f32 v[92:93], v[4:5], v[92:93]                    // 000000006218: D3B1405C 1802B904
	v_pk_mul_f32 v[94:95], v[4:5], v[94:95]                    // 000000006220: D3B1405E 1802BD04
	v_cvt_pk_fp8_f32 v92, v92, v93                             // 000000006228: D2A2005C 0002BB5C
	v_cvt_pk_fp8_f32 v92, v94, v95 op_sel:[0,0,1]              // 000000006230: D2A2405C 0002BF5E
	v_pk_mul_f32 v[108:109], v[4:5], v[108:109]                // 000000006238: D3B1406C 1802D904
	v_pk_mul_f32 v[110:111], v[4:5], v[110:111]                // 000000006240: D3B1406E 1802DD04
	v_cvt_pk_fp8_f32 v108, v108, v109                          // 000000006248: D2A2006C 0002DB6C
	v_cvt_pk_fp8_f32 v108, v110, v111 op_sel:[0,0,1]           // 000000006250: D2A2406C 0002DF6E
	v_rcp_f32_e32 v125, v125                                   // 000000006258: 7EFA457D
	v_mov_b32_e32 v122, 0x358637bd                             // 00000000625C: 7EF402FF 358637BD
	v_max3_f32 v122, |v64|, |v65|, v122                        // 000000006264: D1D3037A 05EA8340
	v_max3_f32 v122, |v66|, |v67|, v122                        // 00000000626C: D1D3037A 05EA8742
	v_max3_f32 v122, |v80|, |v81|, v122                        // 000000006274: D1D3037A 05EAA350
	v_max3_f32 v122, |v82|, |v83|, v122                        // 00000000627C: D1D3037A 05EAA752
	ds_write_b32 v128, v122                                    // 000000006284: D81A0000 00007A80
	s_waitcnt lgkmcnt(0)                                       // 00000000628C: BF8CC07F
	s_barrier                                                  // 000000006290: BF8A0000
	ds_read_b32 v4, v129                                       // 000000006294: D86C0000 04000081
	ds_read_b32 v5, v129 offset:64                             // 00000000629C: D86C0040 05000081
	ds_read_b32 v6, v129 offset:128                            // 0000000062A4: D86C0080 06000081
	ds_read_b32 v7, v129 offset:192                            // 0000000062AC: D86C00C0 07000081
	ds_read_b32 v8, v129 offset:256                            // 0000000062B4: D86C0100 08000081
	ds_read_b32 v9, v129 offset:320                            // 0000000062BC: D86C0140 09000081
	ds_read_b32 v10, v129 offset:384                           // 0000000062C4: D86C0180 0A000081
	ds_read_b32 v11, v129 offset:448                           // 0000000062CC: D86C01C0 0B000081
	ds_read_b32 v12, v129 offset:512                           // 0000000062D4: D86C0200 0C000081
	ds_read_b32 v13, v129 offset:576                           // 0000000062DC: D86C0240 0D000081
	ds_read_b32 v14, v129 offset:640                           // 0000000062E4: D86C0280 0E000081
	ds_read_b32 v15, v129 offset:704                           // 0000000062EC: D86C02C0 0F000081
	ds_read_b32 v16, v129 offset:768                           // 0000000062F4: D86C0300 10000081
	ds_read_b32 v17, v129 offset:832                           // 0000000062FC: D86C0340 11000081
	ds_read_b32 v18, v129 offset:896                           // 000000006304: D86C0380 12000081
	ds_read_b32 v19, v129 offset:960                           // 00000000630C: D86C03C0 13000081
	s_waitcnt lgkmcnt(0)                                       // 000000006314: BF8CC07F
	s_barrier                                                  // 000000006318: BF8A0000
	v_max3_f32 v122, |v4|, |v5|, v122                          // 00000000631C: D1D3037A 05EA0B04
	v_max3_f32 v122, |v6|, |v7|, v122                          // 000000006324: D1D3037A 05EA0F06
	v_max3_f32 v122, |v8|, |v9|, v122                          // 00000000632C: D1D3037A 05EA1308
	v_max3_f32 v122, |v10|, |v11|, v122                        // 000000006334: D1D3037A 05EA170A
	v_max3_f32 v122, |v12|, |v13|, v122                        // 00000000633C: D1D3037A 05EA1B0C
	v_max3_f32 v122, |v14|, |v15|, v122                        // 000000006344: D1D3037A 05EA1F0E
	v_max3_f32 v122, |v16|, |v17|, v122                        // 00000000634C: D1D3037A 05EA2310
	v_max3_f32 v122, |v18|, |v19|, v122                        // 000000006354: D1D3037A 05EA2712
	v_rcp_f32_e32 v122, v122                                   // 00000000635C: 7EF4457A
	v_mov_b32_e32 v4, 0x43700000                               // 000000006360: 7E0802FF 43700000
	v_mul_f32_e32 v122, v4, v122                               // 000000006368: 0AF4F504
	v_mov_b32_e32 v4, v122                                     // 00000000636C: 7E08037A
	v_mov_b32_e32 v5, v4                                       // 000000006370: 7E0A0304
	v_pk_mul_f32 v[64:65], v[4:5], v[64:65]                    // 000000006374: D3B14040 18028104
	v_pk_mul_f32 v[66:67], v[4:5], v[66:67]                    // 00000000637C: D3B14042 18028504
	v_cvt_pk_fp8_f32 v64, v64, v65                             // 000000006384: D2A20040 00028340
	v_cvt_pk_fp8_f32 v64, v66, v67 op_sel:[0,0,1]              // 00000000638C: D2A24040 00028742
	v_pk_mul_f32 v[80:81], v[4:5], v[80:81]                    // 000000006394: D3B14050 1802A104
	v_pk_mul_f32 v[82:83], v[4:5], v[82:83]                    // 00000000639C: D3B14052 1802A504
	v_cvt_pk_fp8_f32 v80, v80, v81                             // 0000000063A4: D2A20050 0002A350
	v_cvt_pk_fp8_f32 v80, v82, v83 op_sel:[0,0,1]              // 0000000063AC: D2A24050 0002A752
	v_rcp_f32_e32 v122, v122                                   // 0000000063B4: 7EF4457A
	v_mov_b32_e32 v126, 0x358637bd                             // 0000000063B8: 7EFC02FF 358637BD
	v_max3_f32 v126, |v96|, |v97|, v126                        // 0000000063C0: D1D3037E 05FAC360
	v_max3_f32 v126, |v98|, |v99|, v126                        // 0000000063C8: D1D3037E 05FAC762
	v_max3_f32 v126, |v112|, |v113|, v126                      // 0000000063D0: D1D3037E 05FAE370
	v_max3_f32 v126, |v114|, |v115|, v126                      // 0000000063D8: D1D3037E 05FAE772
	ds_write_b32 v128, v126                                    // 0000000063E0: D81A0000 00007E80
	s_waitcnt lgkmcnt(0)                                       // 0000000063E8: BF8CC07F
	s_barrier                                                  // 0000000063EC: BF8A0000
	ds_read_b32 v4, v129                                       // 0000000063F0: D86C0000 04000081
	ds_read_b32 v5, v129 offset:64                             // 0000000063F8: D86C0040 05000081
	ds_read_b32 v6, v129 offset:128                            // 000000006400: D86C0080 06000081
	ds_read_b32 v7, v129 offset:192                            // 000000006408: D86C00C0 07000081
	ds_read_b32 v8, v129 offset:256                            // 000000006410: D86C0100 08000081
	ds_read_b32 v9, v129 offset:320                            // 000000006418: D86C0140 09000081
	ds_read_b32 v10, v129 offset:384                           // 000000006420: D86C0180 0A000081
	ds_read_b32 v11, v129 offset:448                           // 000000006428: D86C01C0 0B000081
	ds_read_b32 v12, v129 offset:512                           // 000000006430: D86C0200 0C000081
	ds_read_b32 v13, v129 offset:576                           // 000000006438: D86C0240 0D000081
	ds_read_b32 v14, v129 offset:640                           // 000000006440: D86C0280 0E000081
	ds_read_b32 v15, v129 offset:704                           // 000000006448: D86C02C0 0F000081
	ds_read_b32 v16, v129 offset:768                           // 000000006450: D86C0300 10000081
	ds_read_b32 v17, v129 offset:832                           // 000000006458: D86C0340 11000081
	ds_read_b32 v18, v129 offset:896                           // 000000006460: D86C0380 12000081
	ds_read_b32 v19, v129 offset:960                           // 000000006468: D86C03C0 13000081
	s_waitcnt lgkmcnt(0)                                       // 000000006470: BF8CC07F
	s_barrier                                                  // 000000006474: BF8A0000
	v_max3_f32 v126, |v4|, |v5|, v126                          // 000000006478: D1D3037E 05FA0B04
	v_max3_f32 v126, |v6|, |v7|, v126                          // 000000006480: D1D3037E 05FA0F06
	v_max3_f32 v126, |v8|, |v9|, v126                          // 000000006488: D1D3037E 05FA1308
	v_max3_f32 v126, |v10|, |v11|, v126                        // 000000006490: D1D3037E 05FA170A
	v_max3_f32 v126, |v12|, |v13|, v126                        // 000000006498: D1D3037E 05FA1B0C
	v_max3_f32 v126, |v14|, |v15|, v126                        // 0000000064A0: D1D3037E 05FA1F0E
	v_max3_f32 v126, |v16|, |v17|, v126                        // 0000000064A8: D1D3037E 05FA2310
	v_max3_f32 v126, |v18|, |v19|, v126                        // 0000000064B0: D1D3037E 05FA2712
	v_rcp_f32_e32 v126, v126                                   // 0000000064B8: 7EFC457E
	v_mov_b32_e32 v4, 0x43700000                               // 0000000064BC: 7E0802FF 43700000
	v_mul_f32_e32 v126, v4, v126                               // 0000000064C4: 0AFCFD04
	v_mov_b32_e32 v4, v126                                     // 0000000064C8: 7E08037E
	v_mov_b32_e32 v5, v4                                       // 0000000064CC: 7E0A0304
	v_pk_mul_f32 v[96:97], v[4:5], v[96:97]                    // 0000000064D0: D3B14060 1802C104
	v_pk_mul_f32 v[98:99], v[4:5], v[98:99]                    // 0000000064D8: D3B14062 1802C504
	v_cvt_pk_fp8_f32 v96, v96, v97                             // 0000000064E0: D2A20060 0002C360
	v_cvt_pk_fp8_f32 v96, v98, v99 op_sel:[0,0,1]              // 0000000064E8: D2A24060 0002C762
	v_pk_mul_f32 v[112:113], v[4:5], v[112:113]                // 0000000064F0: D3B14070 1802E104
	v_pk_mul_f32 v[114:115], v[4:5], v[114:115]                // 0000000064F8: D3B14072 1802E504
	v_cvt_pk_fp8_f32 v112, v112, v113                          // 000000006500: D2A20070 0002E370
	v_cvt_pk_fp8_f32 v112, v114, v115 op_sel:[0,0,1]           // 000000006508: D2A24070 0002E772
	v_rcp_f32_e32 v126, v126                                   // 000000006510: 7EFC457E
	v_mov_b32_e32 v123, 0x358637bd                             // 000000006514: 7EF602FF 358637BD
	v_max3_f32 v123, |v68|, |v69|, v123                        // 00000000651C: D1D3037B 05EE8B44
	v_max3_f32 v123, |v70|, |v71|, v123                        // 000000006524: D1D3037B 05EE8F46
	v_max3_f32 v123, |v84|, |v85|, v123                        // 00000000652C: D1D3037B 05EEAB54
	v_max3_f32 v123, |v86|, |v87|, v123                        // 000000006534: D1D3037B 05EEAF56
	ds_write_b32 v128, v123                                    // 00000000653C: D81A0000 00007B80
	s_waitcnt lgkmcnt(0)                                       // 000000006544: BF8CC07F
	s_barrier                                                  // 000000006548: BF8A0000
	ds_read_b32 v4, v129                                       // 00000000654C: D86C0000 04000081
	ds_read_b32 v5, v129 offset:64                             // 000000006554: D86C0040 05000081
	ds_read_b32 v6, v129 offset:128                            // 00000000655C: D86C0080 06000081
	ds_read_b32 v7, v129 offset:192                            // 000000006564: D86C00C0 07000081
	ds_read_b32 v8, v129 offset:256                            // 00000000656C: D86C0100 08000081
	ds_read_b32 v9, v129 offset:320                            // 000000006574: D86C0140 09000081
	ds_read_b32 v10, v129 offset:384                           // 00000000657C: D86C0180 0A000081
	ds_read_b32 v11, v129 offset:448                           // 000000006584: D86C01C0 0B000081
	ds_read_b32 v12, v129 offset:512                           // 00000000658C: D86C0200 0C000081
	ds_read_b32 v13, v129 offset:576                           // 000000006594: D86C0240 0D000081
	ds_read_b32 v14, v129 offset:640                           // 00000000659C: D86C0280 0E000081
	ds_read_b32 v15, v129 offset:704                           // 0000000065A4: D86C02C0 0F000081
	ds_read_b32 v16, v129 offset:768                           // 0000000065AC: D86C0300 10000081
	ds_read_b32 v17, v129 offset:832                           // 0000000065B4: D86C0340 11000081
	ds_read_b32 v18, v129 offset:896                           // 0000000065BC: D86C0380 12000081
	ds_read_b32 v19, v129 offset:960                           // 0000000065C4: D86C03C0 13000081
	s_waitcnt lgkmcnt(0)                                       // 0000000065CC: BF8CC07F
	s_barrier                                                  // 0000000065D0: BF8A0000
	v_max3_f32 v123, |v4|, |v5|, v123                          // 0000000065D4: D1D3037B 05EE0B04
	v_max3_f32 v123, |v6|, |v7|, v123                          // 0000000065DC: D1D3037B 05EE0F06
	v_max3_f32 v123, |v8|, |v9|, v123                          // 0000000065E4: D1D3037B 05EE1308
	v_max3_f32 v123, |v10|, |v11|, v123                        // 0000000065EC: D1D3037B 05EE170A
	v_max3_f32 v123, |v12|, |v13|, v123                        // 0000000065F4: D1D3037B 05EE1B0C
	v_max3_f32 v123, |v14|, |v15|, v123                        // 0000000065FC: D1D3037B 05EE1F0E
	v_max3_f32 v123, |v16|, |v17|, v123                        // 000000006604: D1D3037B 05EE2310
	v_max3_f32 v123, |v18|, |v19|, v123                        // 00000000660C: D1D3037B 05EE2712
	v_rcp_f32_e32 v123, v123                                   // 000000006614: 7EF6457B
	v_mov_b32_e32 v4, 0x43700000                               // 000000006618: 7E0802FF 43700000
	v_mul_f32_e32 v123, v4, v123                               // 000000006620: 0AF6F704
	v_mov_b32_e32 v4, v123                                     // 000000006624: 7E08037B
	v_mov_b32_e32 v5, v4                                       // 000000006628: 7E0A0304
	v_pk_mul_f32 v[68:69], v[4:5], v[68:69]                    // 00000000662C: D3B14044 18028904
	v_pk_mul_f32 v[70:71], v[4:5], v[70:71]                    // 000000006634: D3B14046 18028D04
	v_cvt_pk_fp8_f32 v68, v68, v69                             // 00000000663C: D2A20044 00028B44
	v_cvt_pk_fp8_f32 v68, v70, v71 op_sel:[0,0,1]              // 000000006644: D2A24044 00028F46
	v_pk_mul_f32 v[84:85], v[4:5], v[84:85]                    // 00000000664C: D3B14054 1802A904
	v_pk_mul_f32 v[86:87], v[4:5], v[86:87]                    // 000000006654: D3B14056 1802AD04
	v_cvt_pk_fp8_f32 v84, v84, v85                             // 00000000665C: D2A20054 0002AB54
	v_cvt_pk_fp8_f32 v84, v86, v87 op_sel:[0,0,1]              // 000000006664: D2A24054 0002AF56
	v_rcp_f32_e32 v123, v123                                   // 00000000666C: 7EF6457B
	v_mov_b32_e32 v127, 0x358637bd                             // 000000006670: 7EFE02FF 358637BD
	v_max3_f32 v127, |v100|, |v101|, v127                      // 000000006678: D1D3037F 05FECB64
	v_max3_f32 v127, |v102|, |v103|, v127                      // 000000006680: D1D3037F 05FECF66
	v_max3_f32 v127, |v116|, |v117|, v127                      // 000000006688: D1D3037F 05FEEB74
	v_max3_f32 v127, |v118|, |v119|, v127                      // 000000006690: D1D3037F 05FEEF76
	ds_write_b32 v128, v127                                    // 000000006698: D81A0000 00007F80
	s_waitcnt lgkmcnt(0)                                       // 0000000066A0: BF8CC07F
	s_barrier                                                  // 0000000066A4: BF8A0000
	ds_read_b32 v4, v129                                       // 0000000066A8: D86C0000 04000081
	ds_read_b32 v5, v129 offset:64                             // 0000000066B0: D86C0040 05000081
	ds_read_b32 v6, v129 offset:128                            // 0000000066B8: D86C0080 06000081
	ds_read_b32 v7, v129 offset:192                            // 0000000066C0: D86C00C0 07000081
	ds_read_b32 v8, v129 offset:256                            // 0000000066C8: D86C0100 08000081
	ds_read_b32 v9, v129 offset:320                            // 0000000066D0: D86C0140 09000081
	ds_read_b32 v10, v129 offset:384                           // 0000000066D8: D86C0180 0A000081
	ds_read_b32 v11, v129 offset:448                           // 0000000066E0: D86C01C0 0B000081
	ds_read_b32 v12, v129 offset:512                           // 0000000066E8: D86C0200 0C000081
	ds_read_b32 v13, v129 offset:576                           // 0000000066F0: D86C0240 0D000081
	ds_read_b32 v14, v129 offset:640                           // 0000000066F8: D86C0280 0E000081
	ds_read_b32 v15, v129 offset:704                           // 000000006700: D86C02C0 0F000081
	ds_read_b32 v16, v129 offset:768                           // 000000006708: D86C0300 10000081
	ds_read_b32 v17, v129 offset:832                           // 000000006710: D86C0340 11000081
	ds_read_b32 v18, v129 offset:896                           // 000000006718: D86C0380 12000081
	ds_read_b32 v19, v129 offset:960                           // 000000006720: D86C03C0 13000081
	s_waitcnt lgkmcnt(0)                                       // 000000006728: BF8CC07F
	s_barrier                                                  // 00000000672C: BF8A0000
	v_max3_f32 v127, |v4|, |v5|, v127                          // 000000006730: D1D3037F 05FE0B04
	v_max3_f32 v127, |v6|, |v7|, v127                          // 000000006738: D1D3037F 05FE0F06
	v_max3_f32 v127, |v8|, |v9|, v127                          // 000000006740: D1D3037F 05FE1308
	v_max3_f32 v127, |v10|, |v11|, v127                        // 000000006748: D1D3037F 05FE170A
	v_max3_f32 v127, |v12|, |v13|, v127                        // 000000006750: D1D3037F 05FE1B0C
	v_max3_f32 v127, |v14|, |v15|, v127                        // 000000006758: D1D3037F 05FE1F0E
	v_max3_f32 v127, |v16|, |v17|, v127                        // 000000006760: D1D3037F 05FE2310
	v_max3_f32 v127, |v18|, |v19|, v127                        // 000000006768: D1D3037F 05FE2712
	v_rcp_f32_e32 v127, v127                                   // 000000006770: 7EFE457F
	v_mov_b32_e32 v4, 0x43700000                               // 000000006774: 7E0802FF 43700000
	v_mul_f32_e32 v127, v4, v127                               // 00000000677C: 0AFEFF04
	v_mov_b32_e32 v4, v127                                     // 000000006780: 7E08037F
	v_mov_b32_e32 v5, v4                                       // 000000006784: 7E0A0304
	v_pk_mul_f32 v[100:101], v[4:5], v[100:101]                // 000000006788: D3B14064 1802C904
	v_pk_mul_f32 v[102:103], v[4:5], v[102:103]                // 000000006790: D3B14066 1802CD04
	v_cvt_pk_fp8_f32 v100, v100, v101                          // 000000006798: D2A20064 0002CB64
	v_cvt_pk_fp8_f32 v100, v102, v103 op_sel:[0,0,1]           // 0000000067A0: D2A24064 0002CF66
	v_pk_mul_f32 v[116:117], v[4:5], v[116:117]                // 0000000067A8: D3B14074 1802E904
	v_pk_mul_f32 v[118:119], v[4:5], v[118:119]                // 0000000067B0: D3B14076 1802ED04
	v_cvt_pk_fp8_f32 v116, v116, v117                          // 0000000067B8: D2A20074 0002EB74
	v_cvt_pk_fp8_f32 v116, v118, v119 op_sel:[0,0,1]           // 0000000067C0: D2A24074 0002EF76
	v_rcp_f32_e32 v127, v127                                   // 0000000067C8: 7EFE457F
	v_lshrrev_b32_e32 v4, 5, v0                                // 0000000067CC: 20080085
	v_mul_lo_u32 v20, 34, v4                                   // 0000000067D0: D2850014 000208A2
	v_and_b32_e32 v4, 31, v0                                   // 0000000067D8: 2608009F
	v_lshrrev_b32_e32 v5, 4, v4                                // 0000000067DC: 200A0884
	v_add_u32_e32 v20, v5, v20                                 // 0000000067E0: 68282905
	v_and_b32_e32 v4, 15, v0                                   // 0000000067E4: 2608008F
	v_mul_lo_u32 v5, 2, v4                                     // 0000000067E8: D2850005 00020882
	v_add_u32_e32 v20, v5, v20                                 // 0000000067F0: 68282905
	s_mul_i32 s60, s7, 0x44                                    // 0000000067F4: 923CFF07 00000044
	v_add_u32_e32 v20, s60, v20                                // 0000000067FC: 6828283C
	v_lshlrev_b32_e32 v20, 2, v20                              // 000000006800: 24282882
	ds_write_b32 v20, v56                                      // 000000006804: D81A0000 00003814
	ds_write_b32 v20, v60 offset:4352                          // 00000000680C: D81A1100 00003C14
	ds_write_b32 v20, v64 offset:8704                          // 000000006814: D81A2200 00004014
	ds_write_b32 v20, v68 offset:13056                         // 00000000681C: D81A3300 00004414
	ds_write_b32 v20, v72 offset:1088                          // 000000006824: D81A0440 00004814
	ds_write_b32 v20, v76 offset:5440                          // 00000000682C: D81A1540 00004C14
	ds_write_b32 v20, v80 offset:9792                          // 000000006834: D81A2640 00005014
	ds_write_b32 v20, v84 offset:14144                         // 00000000683C: D81A3740 00005414
	ds_write_b32 v20, v88 offset:2176                          // 000000006844: D81A0880 00005814
	ds_write_b32 v20, v92 offset:6528                          // 00000000684C: D81A1980 00005C14
	ds_write_b32 v20, v96 offset:10880                         // 000000006854: D81A2A80 00006014
	ds_write_b32 v20, v100 offset:15232                        // 00000000685C: D81A3B80 00006414
	ds_write_b32 v20, v104 offset:3264                         // 000000006864: D81A0CC0 00006814
	ds_write_b32 v20, v108 offset:7616                         // 00000000686C: D81A1DC0 00006C14
	ds_write_b32 v20, v112 offset:11968                        // 000000006874: D81A2EC0 00007014
	ds_write_b32 v20, v116 offset:16320                        // 00000000687C: D81A3FC0 00007414
	v_lshrrev_b32_e32 v4, 5, v0                                // 000000006884: 20080085
	v_xor_b32_e32 v5, 1, v4                                    // 000000006888: 2A0A0881
	s_mul_i32 s60, s65, 1                                      // 00000000688C: 923C8141
	s_cmp_eq_u32 s88, 0                                        // 000000006890: BF068058
	s_cselect_b32 s61, 1, 8                                    // 000000006894: 853D8881
	s_mul_i32 s60, s61, s60                                    // 000000006898: 923C3C3D
	v_readlane_b32 s82, v3, 0                                  // 00000000689C: D2890052 00010103
	s_lshr_b32 s61, s82, 24                                    // 0000000068A4: 8F3D9852
	s_and_b32 s82, s82, 0xffffff                               // 0000000068A8: 8652FF52 00FFFFFF
	s_mul_i32 s82, s82, s71                                    // 0000000068B0: 92524752
	s_mul_i32 s61, s60, s61                                    // 0000000068B4: 923D3D3C
	s_add_u32 s82, s82, s61                                    // 0000000068B8: 80523D52
	v_mul_lo_u32 v6, v5, s82                                   // 0000000068BC: D2850006 0000A505
	v_readlane_b32 s82, v3, 1                                  // 0000000068C4: D2890052 00010303
	s_lshr_b32 s61, s82, 24                                    // 0000000068CC: 8F3D9852
	s_and_b32 s82, s82, 0xffffff                               // 0000000068D0: 8652FF52 00FFFFFF
	s_mul_i32 s82, s82, s71                                    // 0000000068D8: 92524752
	s_mul_i32 s61, s60, s61                                    // 0000000068DC: 923D3D3C
	s_add_u32 s82, s82, s61                                    // 0000000068E0: 80523D52
	v_mul_lo_u32 v7, v4, s82                                   // 0000000068E4: D2850007 0000A504
	v_add_u32_e32 v44, v6, v7                                  // 0000000068EC: 68580F06
	v_readlane_b32 s82, v3, 2                                  // 0000000068F0: D2890052 00010503
	s_lshr_b32 s61, s82, 24                                    // 0000000068F8: 8F3D9852
	s_and_b32 s82, s82, 0xffffff                               // 0000000068FC: 8652FF52 00FFFFFF
	s_mul_i32 s82, s82, s71                                    // 000000006904: 92524752
	s_mul_i32 s61, s60, s61                                    // 000000006908: 923D3D3C
	s_add_u32 s82, s82, s61                                    // 00000000690C: 80523D52
	v_mul_lo_u32 v6, v5, s82                                   // 000000006910: D2850006 0000A505
	v_readlane_b32 s82, v3, 3                                  // 000000006918: D2890052 00010703
	s_lshr_b32 s61, s82, 24                                    // 000000006920: 8F3D9852
	s_and_b32 s82, s82, 0xffffff                               // 000000006924: 8652FF52 00FFFFFF
	s_mul_i32 s82, s82, s71                                    // 00000000692C: 92524752
	s_mul_i32 s61, s60, s61                                    // 000000006930: 923D3D3C
	s_add_u32 s82, s82, s61                                    // 000000006934: 80523D52
	v_mul_lo_u32 v7, v4, s82                                   // 000000006938: D2850007 0000A504
	v_add_u32_e32 v45, v6, v7                                  // 000000006940: 685A0F06
	v_readlane_b32 s82, v3, 4                                  // 000000006944: D2890052 00010903
	s_lshr_b32 s61, s82, 24                                    // 00000000694C: 8F3D9852
	s_and_b32 s82, s82, 0xffffff                               // 000000006950: 8652FF52 00FFFFFF
	s_mul_i32 s82, s82, s71                                    // 000000006958: 92524752
	s_mul_i32 s61, s60, s61                                    // 00000000695C: 923D3D3C
	s_add_u32 s82, s82, s61                                    // 000000006960: 80523D52
	v_mul_lo_u32 v6, v5, s82                                   // 000000006964: D2850006 0000A505
	v_readlane_b32 s82, v3, 5                                  // 00000000696C: D2890052 00010B03
	s_lshr_b32 s61, s82, 24                                    // 000000006974: 8F3D9852
	s_and_b32 s82, s82, 0xffffff                               // 000000006978: 8652FF52 00FFFFFF
	s_mul_i32 s82, s82, s71                                    // 000000006980: 92524752
	s_mul_i32 s61, s60, s61                                    // 000000006984: 923D3D3C
	s_add_u32 s82, s82, s61                                    // 000000006988: 80523D52
	v_mul_lo_u32 v7, v4, s82                                   // 00000000698C: D2850007 0000A504
	v_add_u32_e32 v46, v6, v7                                  // 000000006994: 685C0F06
	v_readlane_b32 s82, v3, 6                                  // 000000006998: D2890052 00010D03
	s_lshr_b32 s61, s82, 24                                    // 0000000069A0: 8F3D9852
	s_and_b32 s82, s82, 0xffffff                               // 0000000069A4: 8652FF52 00FFFFFF
	s_mul_i32 s82, s82, s71                                    // 0000000069AC: 92524752
	s_mul_i32 s61, s60, s61                                    // 0000000069B0: 923D3D3C
	s_add_u32 s82, s82, s61                                    // 0000000069B4: 80523D52
	v_mul_lo_u32 v6, v5, s82                                   // 0000000069B8: D2850006 0000A505
	v_readlane_b32 s82, v3, 7                                  // 0000000069C0: D2890052 00010F03
	s_lshr_b32 s61, s82, 24                                    // 0000000069C8: 8F3D9852
	s_and_b32 s82, s82, 0xffffff                               // 0000000069CC: 8652FF52 00FFFFFF
	s_mul_i32 s82, s82, s71                                    // 0000000069D4: 92524752
	s_mul_i32 s61, s60, s61                                    // 0000000069D8: 923D3D3C
	s_add_u32 s82, s82, s61                                    // 0000000069DC: 80523D52
	v_mul_lo_u32 v7, v4, s82                                   // 0000000069E0: D2850007 0000A504
	v_add_u32_e32 v47, v6, v7                                  // 0000000069E8: 685E0F06
	v_readlane_b32 s82, v3, 8                                  // 0000000069EC: D2890052 00011103
	s_lshr_b32 s61, s82, 24                                    // 0000000069F4: 8F3D9852
	s_and_b32 s82, s82, 0xffffff                               // 0000000069F8: 8652FF52 00FFFFFF
	s_mul_i32 s82, s82, s71                                    // 000000006A00: 92524752
	s_mul_i32 s61, s60, s61                                    // 000000006A04: 923D3D3C
	s_add_u32 s82, s82, s61                                    // 000000006A08: 80523D52
	v_mul_lo_u32 v6, v5, s82                                   // 000000006A0C: D2850006 0000A505
	v_readlane_b32 s82, v3, 9                                  // 000000006A14: D2890052 00011303
	s_lshr_b32 s61, s82, 24                                    // 000000006A1C: 8F3D9852
	s_and_b32 s82, s82, 0xffffff                               // 000000006A20: 8652FF52 00FFFFFF
	s_mul_i32 s82, s82, s71                                    // 000000006A28: 92524752
	s_mul_i32 s61, s60, s61                                    // 000000006A2C: 923D3D3C
	s_add_u32 s82, s82, s61                                    // 000000006A30: 80523D52
	v_mul_lo_u32 v7, v4, s82                                   // 000000006A34: D2850007 0000A504
	v_add_u32_e32 v48, v6, v7                                  // 000000006A3C: 68600F06
	v_readlane_b32 s82, v3, 10                                 // 000000006A40: D2890052 00011503
	s_lshr_b32 s61, s82, 24                                    // 000000006A48: 8F3D9852
	s_and_b32 s82, s82, 0xffffff                               // 000000006A4C: 8652FF52 00FFFFFF
	s_mul_i32 s82, s82, s71                                    // 000000006A54: 92524752
	s_mul_i32 s61, s60, s61                                    // 000000006A58: 923D3D3C
	s_add_u32 s82, s82, s61                                    // 000000006A5C: 80523D52
	v_mul_lo_u32 v6, v5, s82                                   // 000000006A60: D2850006 0000A505
	v_readlane_b32 s82, v3, 11                                 // 000000006A68: D2890052 00011703
	s_lshr_b32 s61, s82, 24                                    // 000000006A70: 8F3D9852
	s_and_b32 s82, s82, 0xffffff                               // 000000006A74: 8652FF52 00FFFFFF
	s_mul_i32 s82, s82, s71                                    // 000000006A7C: 92524752
	s_mul_i32 s61, s60, s61                                    // 000000006A80: 923D3D3C
	s_add_u32 s82, s82, s61                                    // 000000006A84: 80523D52
	v_mul_lo_u32 v7, v4, s82                                   // 000000006A88: D2850007 0000A504
	v_add_u32_e32 v49, v6, v7                                  // 000000006A90: 68620F06
	v_readlane_b32 s82, v3, 12                                 // 000000006A94: D2890052 00011903
	s_lshr_b32 s61, s82, 24                                    // 000000006A9C: 8F3D9852
	s_and_b32 s82, s82, 0xffffff                               // 000000006AA0: 8652FF52 00FFFFFF
	s_mul_i32 s82, s82, s71                                    // 000000006AA8: 92524752
	s_mul_i32 s61, s60, s61                                    // 000000006AAC: 923D3D3C
	s_add_u32 s82, s82, s61                                    // 000000006AB0: 80523D52
	v_mul_lo_u32 v6, v5, s82                                   // 000000006AB4: D2850006 0000A505
	v_readlane_b32 s82, v3, 13                                 // 000000006ABC: D2890052 00011B03
	s_lshr_b32 s61, s82, 24                                    // 000000006AC4: 8F3D9852
	s_and_b32 s82, s82, 0xffffff                               // 000000006AC8: 8652FF52 00FFFFFF
	s_mul_i32 s82, s82, s71                                    // 000000006AD0: 92524752
	s_mul_i32 s61, s60, s61                                    // 000000006AD4: 923D3D3C
	s_add_u32 s82, s82, s61                                    // 000000006AD8: 80523D52
	v_mul_lo_u32 v7, v4, s82                                   // 000000006ADC: D2850007 0000A504
	v_add_u32_e32 v50, v6, v7                                  // 000000006AE4: 68640F06
	v_readlane_b32 s82, v3, 14                                 // 000000006AE8: D2890052 00011D03
	s_lshr_b32 s61, s82, 24                                    // 000000006AF0: 8F3D9852
	s_and_b32 s82, s82, 0xffffff                               // 000000006AF4: 8652FF52 00FFFFFF
	s_mul_i32 s82, s82, s71                                    // 000000006AFC: 92524752
	s_mul_i32 s61, s60, s61                                    // 000000006B00: 923D3D3C
	s_add_u32 s82, s82, s61                                    // 000000006B04: 80523D52
	v_mul_lo_u32 v6, v5, s82                                   // 000000006B08: D2850006 0000A505
	v_readlane_b32 s82, v3, 15                                 // 000000006B10: D2890052 00011F03
	s_lshr_b32 s61, s82, 24                                    // 000000006B18: 8F3D9852
	s_and_b32 s82, s82, 0xffffff                               // 000000006B1C: 8652FF52 00FFFFFF
	s_mul_i32 s82, s82, s71                                    // 000000006B24: 92524752
	s_mul_i32 s61, s60, s61                                    // 000000006B28: 923D3D3C
	s_add_u32 s82, s82, s61                                    // 000000006B2C: 80523D52
	v_mul_lo_u32 v7, v4, s82                                   // 000000006B30: D2850007 0000A504
	v_add_u32_e32 v51, v6, v7                                  // 000000006B38: 68660F06
	v_and_b32_e32 v4, 31, v0                                   // 000000006B3C: 2608009F
	v_lshrrev_b32_e32 v4, 1, v4                                // 000000006B40: 20080881
	s_cmp_eq_u32 s88, 0                                        // 000000006B44: BF068058
	s_cselect_b32 s61, 2, 4                                    // 000000006B48: 853D8482
	v_mul_lo_u32 v4, v4, s61                                   // 000000006B4C: D2850004 00007B04
	v_and_b32_e64 v5, v0, 1                                    // 000000006B54: D1130005 00010300
	v_add_u32_e32 v4, v4, v5                                   // 000000006B5C: 68080B04
	v_lshlrev_b32_e32 v4, 2, v4                                // 000000006B60: 24080882
	v_add_u32_e32 v44, v44, v4                                 // 000000006B64: 6858092C
	v_add_u32_e32 v45, v45, v4                                 // 000000006B68: 685A092D
	v_add_u32_e32 v46, v46, v4                                 // 000000006B6C: 685C092E
	v_add_u32_e32 v47, v47, v4                                 // 000000006B70: 685E092F
	v_add_u32_e32 v48, v48, v4                                 // 000000006B74: 68600930
	v_add_u32_e32 v49, v49, v4                                 // 000000006B78: 68620931
	v_add_u32_e32 v50, v50, v4                                 // 000000006B7C: 68640932
	v_add_u32_e32 v51, v51, v4                                 // 000000006B80: 68660933
	s_waitcnt lgkmcnt(0)                                       // 000000006B84: BF8CC07F
	s_barrier                                                  // 000000006B88: BF8A0000
	ds_read_b32 v56, v21                                       // 000000006B8C: D86C0000 38000015
	ds_read_b32 v57, v21 offset:64                             // 000000006B94: D86C0040 39000015
	ds_read_b32 v58, v21 offset:2176                           // 000000006B9C: D86C0880 3A000015
	ds_read_b32 v59, v21 offset:2240                           // 000000006BA4: D86C08C0 3B000015
	ds_read_b32 v60, v21 offset:4352                           // 000000006BAC: D86C1100 3C000015
	ds_read_b32 v61, v21 offset:4416                           // 000000006BB4: D86C1140 3D000015
	ds_read_b32 v62, v21 offset:6528                           // 000000006BBC: D86C1980 3E000015
	ds_read_b32 v63, v21 offset:6592                           // 000000006BC4: D86C19C0 3F000015
	ds_read_b32 v64, v21 offset:8704                           // 000000006BCC: D86C2200 40000015
	ds_read_b32 v65, v21 offset:8768                           // 000000006BD4: D86C2240 41000015
	ds_read_b32 v66, v21 offset:10880                          // 000000006BDC: D86C2A80 42000015
	ds_read_b32 v67, v21 offset:10944                          // 000000006BE4: D86C2AC0 43000015
	ds_read_b32 v68, v21 offset:13056                          // 000000006BEC: D86C3300 44000015
	ds_read_b32 v69, v21 offset:13120                          // 000000006BF4: D86C3340 45000015
	ds_read_b32 v70, v21 offset:15232                          // 000000006BFC: D86C3B80 46000015
	ds_read_b32 v71, v21 offset:15296                          // 000000006C04: D86C3BC0 47000015
	s_waitcnt lgkmcnt(0)                                       // 000000006C0C: BF8CC07F
	s_mov_b32 s36, -1                                          // 000000006C10: BEA400C1
	s_mov_b32 s37, -1                                          // 000000006C14: BEA500C1
	v_mov_b32_e32 v7, 0                                        // 000000006C18: 7E0E0280
	s_or_b32 s9, s9, 0x40000                                   // 000000006C1C: 8709FF09 00040000
	s_mov_b64 exec, s[36:37]                                   // 000000006C24: BEFE0124
	v_mov_b32_e32 v6, v44                                      // 000000006C28: 7E0C032C
	s_mov_b64 s[60:61], 0                                      // 000000006C2C: BEBC0180
	v_readlane_b32 s82, v3, 0                                  // 000000006C30: D2890052 00010103
	s_and_b32 s82, s82, 0xffffff                               // 000000006C38: 8652FF52 00FFFFFF
	s_cmp_lt_u32 s82, s66                                      // 000000006C40: BF0A4252
	s_cselect_b32 s20, s36, s60                                // 000000006C44: 85143C24
	v_readlane_b32 s82, v3, 1                                  // 000000006C48: D2890052 00010303
	s_and_b32 s82, s82, 0xffffff                               // 000000006C50: 8652FF52 00FFFFFF
	s_cmp_lt_u32 s82, s66                                      // 000000006C58: BF0A4252
	s_cselect_b32 s21, s36, s60                                // 000000006C5C: 85153C24
	s_mov_b64 exec, s[20:21]                                   // 000000006C60: BEFE0114
	buffer_store_dword v56, v6, s[8:11], 0 offen               // 000000006C64: E0701000 80023806
	buffer_store_dword v58, v6, s[8:11], 0 offen offset:128    // 000000006C6C: E0701080 80023A06
	s_mov_b64 exec, s[36:37]                                   // 000000006C74: BEFE0124
	v_mov_b32_e32 v6, v45                                      // 000000006C78: 7E0C032D
	s_mov_b64 s[60:61], 0                                      // 000000006C7C: BEBC0180
	v_readlane_b32 s82, v3, 2                                  // 000000006C80: D2890052 00010503
	s_and_b32 s82, s82, 0xffffff                               // 000000006C88: 8652FF52 00FFFFFF
	s_cmp_lt_u32 s82, s66                                      // 000000006C90: BF0A4252
	s_cselect_b32 s20, s36, s60                                // 000000006C94: 85143C24
	v_readlane_b32 s82, v3, 3                                  // 000000006C98: D2890052 00010703
	s_and_b32 s82, s82, 0xffffff                               // 000000006CA0: 8652FF52 00FFFFFF
	s_cmp_lt_u32 s82, s66                                      // 000000006CA8: BF0A4252
	s_cselect_b32 s21, s36, s60                                // 000000006CAC: 85153C24
	s_mov_b64 exec, s[20:21]                                   // 000000006CB0: BEFE0114
	buffer_store_dword v57, v6, s[8:11], 0 offen               // 000000006CB4: E0701000 80023906
	buffer_store_dword v59, v6, s[8:11], 0 offen offset:128    // 000000006CBC: E0701080 80023B06
	s_mov_b64 exec, s[36:37]                                   // 000000006CC4: BEFE0124
	v_mov_b32_e32 v6, v46                                      // 000000006CC8: 7E0C032E
	s_mov_b64 s[60:61], 0                                      // 000000006CCC: BEBC0180
	v_readlane_b32 s82, v3, 4                                  // 000000006CD0: D2890052 00010903
	s_and_b32 s82, s82, 0xffffff                               // 000000006CD8: 8652FF52 00FFFFFF
	s_cmp_lt_u32 s82, s66                                      // 000000006CE0: BF0A4252
	s_cselect_b32 s20, s36, s60                                // 000000006CE4: 85143C24
	v_readlane_b32 s82, v3, 5                                  // 000000006CE8: D2890052 00010B03
	s_and_b32 s82, s82, 0xffffff                               // 000000006CF0: 8652FF52 00FFFFFF
	s_cmp_lt_u32 s82, s66                                      // 000000006CF8: BF0A4252
	s_cselect_b32 s21, s36, s60                                // 000000006CFC: 85153C24
	s_mov_b64 exec, s[20:21]                                   // 000000006D00: BEFE0114
	buffer_store_dword v60, v6, s[8:11], 0 offen               // 000000006D04: E0701000 80023C06
	buffer_store_dword v62, v6, s[8:11], 0 offen offset:128    // 000000006D0C: E0701080 80023E06
	s_mov_b64 exec, s[36:37]                                   // 000000006D14: BEFE0124
	v_mov_b32_e32 v6, v47                                      // 000000006D18: 7E0C032F
	s_mov_b64 s[60:61], 0                                      // 000000006D1C: BEBC0180
	v_readlane_b32 s82, v3, 6                                  // 000000006D20: D2890052 00010D03
	s_and_b32 s82, s82, 0xffffff                               // 000000006D28: 8652FF52 00FFFFFF
	s_cmp_lt_u32 s82, s66                                      // 000000006D30: BF0A4252
	s_cselect_b32 s20, s36, s60                                // 000000006D34: 85143C24
	v_readlane_b32 s82, v3, 7                                  // 000000006D38: D2890052 00010F03
	s_and_b32 s82, s82, 0xffffff                               // 000000006D40: 8652FF52 00FFFFFF
	s_cmp_lt_u32 s82, s66                                      // 000000006D48: BF0A4252
	s_cselect_b32 s21, s36, s60                                // 000000006D4C: 85153C24
	s_mov_b64 exec, s[20:21]                                   // 000000006D50: BEFE0114
	buffer_store_dword v61, v6, s[8:11], 0 offen               // 000000006D54: E0701000 80023D06
	buffer_store_dword v63, v6, s[8:11], 0 offen offset:128    // 000000006D5C: E0701080 80023F06
	s_mov_b64 exec, s[36:37]                                   // 000000006D64: BEFE0124
	v_mov_b32_e32 v6, v48                                      // 000000006D68: 7E0C0330
	s_mov_b64 s[60:61], 0                                      // 000000006D6C: BEBC0180
	v_readlane_b32 s82, v3, 8                                  // 000000006D70: D2890052 00011103
	s_and_b32 s82, s82, 0xffffff                               // 000000006D78: 8652FF52 00FFFFFF
	s_cmp_lt_u32 s82, s66                                      // 000000006D80: BF0A4252
	s_cselect_b32 s20, s36, s60                                // 000000006D84: 85143C24
	v_readlane_b32 s82, v3, 9                                  // 000000006D88: D2890052 00011303
	s_and_b32 s82, s82, 0xffffff                               // 000000006D90: 8652FF52 00FFFFFF
	s_cmp_lt_u32 s82, s66                                      // 000000006D98: BF0A4252
	s_cselect_b32 s21, s36, s60                                // 000000006D9C: 85153C24
	s_mov_b64 exec, s[20:21]                                   // 000000006DA0: BEFE0114
	buffer_store_dword v64, v6, s[8:11], 0 offen               // 000000006DA4: E0701000 80024006
	buffer_store_dword v66, v6, s[8:11], 0 offen offset:128    // 000000006DAC: E0701080 80024206
	s_mov_b64 exec, s[36:37]                                   // 000000006DB4: BEFE0124
	v_mov_b32_e32 v6, v49                                      // 000000006DB8: 7E0C0331
	s_mov_b64 s[60:61], 0                                      // 000000006DBC: BEBC0180
	v_readlane_b32 s82, v3, 10                                 // 000000006DC0: D2890052 00011503
	s_and_b32 s82, s82, 0xffffff                               // 000000006DC8: 8652FF52 00FFFFFF
	s_cmp_lt_u32 s82, s66                                      // 000000006DD0: BF0A4252
	s_cselect_b32 s20, s36, s60                                // 000000006DD4: 85143C24
	v_readlane_b32 s82, v3, 11                                 // 000000006DD8: D2890052 00011703
	s_and_b32 s82, s82, 0xffffff                               // 000000006DE0: 8652FF52 00FFFFFF
	s_cmp_lt_u32 s82, s66                                      // 000000006DE8: BF0A4252
	s_cselect_b32 s21, s36, s60                                // 000000006DEC: 85153C24
	s_mov_b64 exec, s[20:21]                                   // 000000006DF0: BEFE0114
	buffer_store_dword v65, v6, s[8:11], 0 offen               // 000000006DF4: E0701000 80024106
	buffer_store_dword v67, v6, s[8:11], 0 offen offset:128    // 000000006DFC: E0701080 80024306
	s_mov_b64 exec, s[36:37]                                   // 000000006E04: BEFE0124
	v_mov_b32_e32 v6, v50                                      // 000000006E08: 7E0C0332
	s_mov_b64 s[60:61], 0                                      // 000000006E0C: BEBC0180
	v_readlane_b32 s82, v3, 12                                 // 000000006E10: D2890052 00011903
	s_and_b32 s82, s82, 0xffffff                               // 000000006E18: 8652FF52 00FFFFFF
	s_cmp_lt_u32 s82, s66                                      // 000000006E20: BF0A4252
	s_cselect_b32 s20, s36, s60                                // 000000006E24: 85143C24
	v_readlane_b32 s82, v3, 13                                 // 000000006E28: D2890052 00011B03
	s_and_b32 s82, s82, 0xffffff                               // 000000006E30: 8652FF52 00FFFFFF
	s_cmp_lt_u32 s82, s66                                      // 000000006E38: BF0A4252
	s_cselect_b32 s21, s36, s60                                // 000000006E3C: 85153C24
	s_mov_b64 exec, s[20:21]                                   // 000000006E40: BEFE0114
	buffer_store_dword v68, v6, s[8:11], 0 offen               // 000000006E44: E0701000 80024406
	buffer_store_dword v70, v6, s[8:11], 0 offen offset:128    // 000000006E4C: E0701080 80024606
	s_mov_b64 exec, s[36:37]                                   // 000000006E54: BEFE0124
	v_mov_b32_e32 v6, v51                                      // 000000006E58: 7E0C0333
	s_mov_b64 s[60:61], 0                                      // 000000006E5C: BEBC0180
	v_readlane_b32 s82, v3, 14                                 // 000000006E60: D2890052 00011D03
	s_and_b32 s82, s82, 0xffffff                               // 000000006E68: 8652FF52 00FFFFFF
	s_cmp_lt_u32 s82, s66                                      // 000000006E70: BF0A4252
	s_cselect_b32 s20, s36, s60                                // 000000006E74: 85143C24
	v_readlane_b32 s82, v3, 15                                 // 000000006E78: D2890052 00011F03
	s_and_b32 s82, s82, 0xffffff                               // 000000006E80: 8652FF52 00FFFFFF
	s_cmp_lt_u32 s82, s66                                      // 000000006E88: BF0A4252
	s_cselect_b32 s21, s36, s60                                // 000000006E8C: 85153C24
	s_mov_b64 exec, s[20:21]                                   // 000000006E90: BEFE0114
	buffer_store_dword v69, v6, s[8:11], 0 offen               // 000000006E94: E0701000 80024506
	buffer_store_dword v71, v6, s[8:11], 0 offen offset:128    // 000000006E9C: E0701080 80024706
	s_mov_b64 exec, s[36:37]                                   // 000000006EA4: BEFE0124
	s_cmp_eq_u32 s7, 0                                         // 000000006EA8: BF068007
	s_cbranch_scc0 label_2ADC                                  // 000000006EAC: BF8419AD
	s_waitcnt vmcnt(16)                                        // 000000006EB0: BF8C4F70
	s_mov_b32 s8, s90                                          // 000000006EB4: BE88005A
	s_mov_b32 s9, s91                                          // 000000006EB8: BE89005B
	s_mul_i32 s60, s66, s71                                    // 000000006EBC: 923C4742
	s_add_u32 s8, s60, s8                                      // 000000006EC0: 8008083C
	s_addc_u32 s9, 0, s9                                       // 000000006EC4: 82090980
	s_lshr_b32 s71, s71, 5                                     // 000000006EC8: 8F478547
	s_mul_i32 s60, s66, s71                                    // 000000006ECC: 923C4742
	s_mov_b32 s10, s60                                         // 000000006ED0: BE8A003C
	s_lshr_b32 s61, s65, 5                                     // 000000006ED4: 8F3D8541
	s_mul_i32 s60, s2, 8                                       // 000000006ED8: 923C8802
	v_lshrrev_b32_e32 v4, 24, v28                              // 000000006EDC: 20083898
	v_mul_lo_u32 v4, s61, v4                                   // 000000006EE0: D2850004 0002083D
	v_and_b32_e32 v28, 0xffffff, v28                           // 000000006EE8: 263838FF 00FFFFFF
	v_mul_lo_u32 v28, s71, v28                                 // 000000006EF0: D285001C 00023847
	v_add_u32_e32 v28, v4, v28                                 // 000000006EF8: 68383904
	v_add_u32_e32 v28, s60, v28                                // 000000006EFC: 6838383C
	v_lshrrev_b32_e32 v4, 24, v29                              // 000000006F00: 20083A98
	v_mul_lo_u32 v4, s61, v4                                   // 000000006F04: D2850004 0002083D
	v_and_b32_e32 v29, 0xffffff, v29                           // 000000006F0C: 263A3AFF 00FFFFFF
	v_mul_lo_u32 v29, s71, v29                                 // 000000006F14: D285001D 00023A47
	v_add_u32_e32 v29, v4, v29                                 // 000000006F1C: 683A3B04
	v_add_u32_e32 v29, s60, v29                                // 000000006F20: 683A3A3C
	v_lshrrev_b32_e32 v4, 24, v30                              // 000000006F24: 20083C98
	v_mul_lo_u32 v4, s61, v4                                   // 000000006F28: D2850004 0002083D
	v_and_b32_e32 v30, 0xffffff, v30                           // 000000006F30: 263C3CFF 00FFFFFF
	v_mul_lo_u32 v30, s71, v30                                 // 000000006F38: D285001E 00023C47
	v_add_u32_e32 v30, v4, v30                                 // 000000006F40: 683C3D04
	v_add_u32_e32 v30, s60, v30                                // 000000006F44: 683C3C3C
	v_lshrrev_b32_e32 v4, 24, v31                              // 000000006F48: 20083E98
	v_mul_lo_u32 v4, s61, v4                                   // 000000006F4C: D2850004 0002083D
	v_and_b32_e32 v31, 0xffffff, v31                           // 000000006F54: 263E3EFF 00FFFFFF
	v_mul_lo_u32 v31, s71, v31                                 // 000000006F5C: D285001F 00023E47
	v_add_u32_e32 v31, v4, v31                                 // 000000006F64: 683E3F04
	v_add_u32_e32 v31, s60, v31                                // 000000006F68: 683E3E3C
	s_mov_b64 exec, 0xffff                                     // 000000006F6C: BEFE01FF 0000FFFF
	buffer_store_dword v120, v28, s[8:11], 0 offen             // 000000006F74: E0701000 8002781C
	buffer_store_dword v124, v28, s[8:11], 0 offen offset:4    // 000000006F7C: E0701004 80027C1C
	buffer_store_dword v121, v29, s[8:11], 0 offen             // 000000006F84: E0701000 8002791D
	buffer_store_dword v125, v29, s[8:11], 0 offen offset:4    // 000000006F8C: E0701004 80027D1D
	buffer_store_dword v122, v30, s[8:11], 0 offen             // 000000006F94: E0701000 80027A1E
	buffer_store_dword v126, v30, s[8:11], 0 offen offset:4    // 000000006F9C: E0701004 80027E1E
	buffer_store_dword v123, v31, s[8:11], 0 offen             // 000000006FA4: E0701000 80027B1F
	buffer_store_dword v127, v31, s[8:11], 0 offen offset:4    // 000000006FAC: E0701004 80027F1F
	s_mov_b64 exec, s[36:37]                                   // 000000006FB4: BEFE0124
	s_branch label_2ADC                                        // 000000006FB8: BF82196A

0000000000006fbc <label_116F>:
	ds_write_b64 v20, v[56:57]                                 // 000000006FBC: D89A0000 00003814
	ds_write_b64 v20, v[60:61] offset:8704                     // 000000006FC4: D89A2200 00003C14
	ds_write_b64 v20, v[64:65] offset:17408                    // 000000006FCC: D89A4400 00004014
	ds_write_b64 v20, v[68:69] offset:26112                    // 000000006FD4: D89A6600 00004414
	ds_write_b64 v20, v[72:73] offset:2176                     // 000000006FDC: D89A0880 00004814
	ds_write_b64 v20, v[76:77] offset:10880                    // 000000006FE4: D89A2A80 00004C14
	ds_write_b64 v20, v[80:81] offset:19584                    // 000000006FEC: D89A4C80 00005014
	ds_write_b64 v20, v[84:85] offset:28288                    // 000000006FF4: D89A6E80 00005414
	ds_write_b64 v20, v[88:89] offset:4352                     // 000000006FFC: D89A1100 00005814
	ds_write_b64 v20, v[92:93] offset:13056                    // 000000007004: D89A3300 00005C14
	ds_write_b64 v20, v[96:97] offset:21760                    // 00000000700C: D89A5500 00006014
	ds_write_b64 v20, v[100:101] offset:30464                  // 000000007014: D89A7700 00006414
	ds_write_b64 v20, v[104:105] offset:6528                   // 00000000701C: D89A1980 00006814
	ds_write_b64 v20, v[108:109] offset:15232                  // 000000007024: D89A3B80 00006C14
	ds_write_b64 v20, v[112:113] offset:23936                  // 00000000702C: D89A5D80 00007014
	ds_write_b64 v20, v[116:117] offset:32640                  // 000000007034: D89A7F80 00007414
	v_lshrrev_b32_e32 v4, 5, v0                                // 00000000703C: 20080085
	v_xor_b32_e32 v5, 1, v4                                    // 000000007040: 2A0A0881
	s_mul_i32 s60, s65, 1                                      // 000000007044: 923C8141
	s_cmp_eq_u32 s88, 0                                        // 000000007048: BF068058
	s_cselect_b32 s61, 1, 8                                    // 00000000704C: 853D8881
	s_mul_i32 s60, s61, s60                                    // 000000007050: 923C3C3D
	v_readlane_b32 s82, v3, 0                                  // 000000007054: D2890052 00010103
	s_lshr_b32 s61, s82, 24                                    // 00000000705C: 8F3D9852
	s_and_b32 s82, s82, 0xffffff                               // 000000007060: 8652FF52 00FFFFFF
	s_mul_i32 s82, s82, s71                                    // 000000007068: 92524752
	s_mul_i32 s61, s60, s61                                    // 00000000706C: 923D3D3C
	s_add_u32 s82, s82, s61                                    // 000000007070: 80523D52
	v_mul_lo_u32 v6, v5, s82                                   // 000000007074: D2850006 0000A505
	v_readlane_b32 s82, v3, 1                                  // 00000000707C: D2890052 00010303
	s_lshr_b32 s61, s82, 24                                    // 000000007084: 8F3D9852
	s_and_b32 s82, s82, 0xffffff                               // 000000007088: 8652FF52 00FFFFFF
	s_mul_i32 s82, s82, s71                                    // 000000007090: 92524752
	s_mul_i32 s61, s60, s61                                    // 000000007094: 923D3D3C
	s_add_u32 s82, s82, s61                                    // 000000007098: 80523D52
	v_mul_lo_u32 v7, v4, s82                                   // 00000000709C: D2850007 0000A504
	v_add_u32_e32 v44, v6, v7                                  // 0000000070A4: 68580F06
	v_readlane_b32 s82, v3, 2                                  // 0000000070A8: D2890052 00010503
	s_lshr_b32 s61, s82, 24                                    // 0000000070B0: 8F3D9852
	s_and_b32 s82, s82, 0xffffff                               // 0000000070B4: 8652FF52 00FFFFFF
	s_mul_i32 s82, s82, s71                                    // 0000000070BC: 92524752
	s_mul_i32 s61, s60, s61                                    // 0000000070C0: 923D3D3C
	s_add_u32 s82, s82, s61                                    // 0000000070C4: 80523D52
	v_mul_lo_u32 v6, v5, s82                                   // 0000000070C8: D2850006 0000A505
	v_readlane_b32 s82, v3, 3                                  // 0000000070D0: D2890052 00010703
	s_lshr_b32 s61, s82, 24                                    // 0000000070D8: 8F3D9852
	s_and_b32 s82, s82, 0xffffff                               // 0000000070DC: 8652FF52 00FFFFFF
	s_mul_i32 s82, s82, s71                                    // 0000000070E4: 92524752
	s_mul_i32 s61, s60, s61                                    // 0000000070E8: 923D3D3C
	s_add_u32 s82, s82, s61                                    // 0000000070EC: 80523D52
	v_mul_lo_u32 v7, v4, s82                                   // 0000000070F0: D2850007 0000A504
	v_add_u32_e32 v45, v6, v7                                  // 0000000070F8: 685A0F06
	v_readlane_b32 s82, v3, 4                                  // 0000000070FC: D2890052 00010903
	s_lshr_b32 s61, s82, 24                                    // 000000007104: 8F3D9852
	s_and_b32 s82, s82, 0xffffff                               // 000000007108: 8652FF52 00FFFFFF
	s_mul_i32 s82, s82, s71                                    // 000000007110: 92524752
	s_mul_i32 s61, s60, s61                                    // 000000007114: 923D3D3C
	s_add_u32 s82, s82, s61                                    // 000000007118: 80523D52
	v_mul_lo_u32 v6, v5, s82                                   // 00000000711C: D2850006 0000A505
	v_readlane_b32 s82, v3, 5                                  // 000000007124: D2890052 00010B03
	s_lshr_b32 s61, s82, 24                                    // 00000000712C: 8F3D9852
	s_and_b32 s82, s82, 0xffffff                               // 000000007130: 8652FF52 00FFFFFF
	s_mul_i32 s82, s82, s71                                    // 000000007138: 92524752
	s_mul_i32 s61, s60, s61                                    // 00000000713C: 923D3D3C
	s_add_u32 s82, s82, s61                                    // 000000007140: 80523D52
	v_mul_lo_u32 v7, v4, s82                                   // 000000007144: D2850007 0000A504
	v_add_u32_e32 v46, v6, v7                                  // 00000000714C: 685C0F06
	v_readlane_b32 s82, v3, 6                                  // 000000007150: D2890052 00010D03
	s_lshr_b32 s61, s82, 24                                    // 000000007158: 8F3D9852
	s_and_b32 s82, s82, 0xffffff                               // 00000000715C: 8652FF52 00FFFFFF
	s_mul_i32 s82, s82, s71                                    // 000000007164: 92524752
	s_mul_i32 s61, s60, s61                                    // 000000007168: 923D3D3C
	s_add_u32 s82, s82, s61                                    // 00000000716C: 80523D52
	v_mul_lo_u32 v6, v5, s82                                   // 000000007170: D2850006 0000A505
	v_readlane_b32 s82, v3, 7                                  // 000000007178: D2890052 00010F03
	s_lshr_b32 s61, s82, 24                                    // 000000007180: 8F3D9852
	s_and_b32 s82, s82, 0xffffff                               // 000000007184: 8652FF52 00FFFFFF
	s_mul_i32 s82, s82, s71                                    // 00000000718C: 92524752
	s_mul_i32 s61, s60, s61                                    // 000000007190: 923D3D3C
	s_add_u32 s82, s82, s61                                    // 000000007194: 80523D52
	v_mul_lo_u32 v7, v4, s82                                   // 000000007198: D2850007 0000A504
	v_add_u32_e32 v47, v6, v7                                  // 0000000071A0: 685E0F06
	v_readlane_b32 s82, v3, 8                                  // 0000000071A4: D2890052 00011103
	s_lshr_b32 s61, s82, 24                                    // 0000000071AC: 8F3D9852
	s_and_b32 s82, s82, 0xffffff                               // 0000000071B0: 8652FF52 00FFFFFF
	s_mul_i32 s82, s82, s71                                    // 0000000071B8: 92524752
	s_mul_i32 s61, s60, s61                                    // 0000000071BC: 923D3D3C
	s_add_u32 s82, s82, s61                                    // 0000000071C0: 80523D52
	v_mul_lo_u32 v6, v5, s82                                   // 0000000071C4: D2850006 0000A505
	v_readlane_b32 s82, v3, 9                                  // 0000000071CC: D2890052 00011303
	s_lshr_b32 s61, s82, 24                                    // 0000000071D4: 8F3D9852
	s_and_b32 s82, s82, 0xffffff                               // 0000000071D8: 8652FF52 00FFFFFF
	s_mul_i32 s82, s82, s71                                    // 0000000071E0: 92524752
	s_mul_i32 s61, s60, s61                                    // 0000000071E4: 923D3D3C
	s_add_u32 s82, s82, s61                                    // 0000000071E8: 80523D52
	v_mul_lo_u32 v7, v4, s82                                   // 0000000071EC: D2850007 0000A504
	v_add_u32_e32 v48, v6, v7                                  // 0000000071F4: 68600F06
	v_readlane_b32 s82, v3, 10                                 // 0000000071F8: D2890052 00011503
	s_lshr_b32 s61, s82, 24                                    // 000000007200: 8F3D9852
	s_and_b32 s82, s82, 0xffffff                               // 000000007204: 8652FF52 00FFFFFF
	s_mul_i32 s82, s82, s71                                    // 00000000720C: 92524752
	s_mul_i32 s61, s60, s61                                    // 000000007210: 923D3D3C
	s_add_u32 s82, s82, s61                                    // 000000007214: 80523D52
	v_mul_lo_u32 v6, v5, s82                                   // 000000007218: D2850006 0000A505
	v_readlane_b32 s82, v3, 11                                 // 000000007220: D2890052 00011703
	s_lshr_b32 s61, s82, 24                                    // 000000007228: 8F3D9852
	s_and_b32 s82, s82, 0xffffff                               // 00000000722C: 8652FF52 00FFFFFF
	s_mul_i32 s82, s82, s71                                    // 000000007234: 92524752
	s_mul_i32 s61, s60, s61                                    // 000000007238: 923D3D3C
	s_add_u32 s82, s82, s61                                    // 00000000723C: 80523D52
	v_mul_lo_u32 v7, v4, s82                                   // 000000007240: D2850007 0000A504
	v_add_u32_e32 v49, v6, v7                                  // 000000007248: 68620F06
	v_readlane_b32 s82, v3, 12                                 // 00000000724C: D2890052 00011903
	s_lshr_b32 s61, s82, 24                                    // 000000007254: 8F3D9852
	s_and_b32 s82, s82, 0xffffff                               // 000000007258: 8652FF52 00FFFFFF
	s_mul_i32 s82, s82, s71                                    // 000000007260: 92524752
	s_mul_i32 s61, s60, s61                                    // 000000007264: 923D3D3C
	s_add_u32 s82, s82, s61                                    // 000000007268: 80523D52
	v_mul_lo_u32 v6, v5, s82                                   // 00000000726C: D2850006 0000A505
	v_readlane_b32 s82, v3, 13                                 // 000000007274: D2890052 00011B03
	s_lshr_b32 s61, s82, 24                                    // 00000000727C: 8F3D9852
	s_and_b32 s82, s82, 0xffffff                               // 000000007280: 8652FF52 00FFFFFF
	s_mul_i32 s82, s82, s71                                    // 000000007288: 92524752
	s_mul_i32 s61, s60, s61                                    // 00000000728C: 923D3D3C
	s_add_u32 s82, s82, s61                                    // 000000007290: 80523D52
	v_mul_lo_u32 v7, v4, s82                                   // 000000007294: D2850007 0000A504
	v_add_u32_e32 v50, v6, v7                                  // 00000000729C: 68640F06
	v_readlane_b32 s82, v3, 14                                 // 0000000072A0: D2890052 00011D03
	s_lshr_b32 s61, s82, 24                                    // 0000000072A8: 8F3D9852
	s_and_b32 s82, s82, 0xffffff                               // 0000000072AC: 8652FF52 00FFFFFF
	s_mul_i32 s82, s82, s71                                    // 0000000072B4: 92524752
	s_mul_i32 s61, s60, s61                                    // 0000000072B8: 923D3D3C
	s_add_u32 s82, s82, s61                                    // 0000000072BC: 80523D52
	v_mul_lo_u32 v6, v5, s82                                   // 0000000072C0: D2850006 0000A505
	v_readlane_b32 s82, v3, 15                                 // 0000000072C8: D2890052 00011F03
	s_lshr_b32 s61, s82, 24                                    // 0000000072D0: 8F3D9852
	s_and_b32 s82, s82, 0xffffff                               // 0000000072D4: 8652FF52 00FFFFFF
	s_mul_i32 s82, s82, s71                                    // 0000000072DC: 92524752
	s_mul_i32 s61, s60, s61                                    // 0000000072E0: 923D3D3C
	s_add_u32 s82, s82, s61                                    // 0000000072E4: 80523D52
	v_mul_lo_u32 v7, v4, s82                                   // 0000000072E8: D2850007 0000A504
	v_add_u32_e32 v51, v6, v7                                  // 0000000072F0: 68660F06
	v_and_b32_e32 v4, 31, v0                                   // 0000000072F4: 2608009F
	v_lshrrev_b32_e32 v4, 1, v4                                // 0000000072F8: 20080881
	s_cmp_eq_u32 s88, 0                                        // 0000000072FC: BF068058
	s_cselect_b32 s61, 2, 4                                    // 000000007300: 853D8482
	v_mul_lo_u32 v4, v4, s61                                   // 000000007304: D2850004 00007B04
	v_and_b32_e64 v5, v0, 1                                    // 00000000730C: D1130005 00010300
	v_add_u32_e32 v4, v4, v5                                   // 000000007314: 68080B04
	v_lshlrev_b32_e32 v4, 2, v4                                // 000000007318: 24080882
	v_add_u32_e32 v44, v44, v4                                 // 00000000731C: 6858092C
	v_add_u32_e32 v45, v45, v4                                 // 000000007320: 685A092D
	v_add_u32_e32 v46, v46, v4                                 // 000000007324: 685C092E
	v_add_u32_e32 v47, v47, v4                                 // 000000007328: 685E092F
	v_add_u32_e32 v48, v48, v4                                 // 00000000732C: 68600930
	v_add_u32_e32 v49, v49, v4                                 // 000000007330: 68620931
	v_add_u32_e32 v50, v50, v4                                 // 000000007334: 68640932
	;; [unrolled: 1-line block ×3, first 2 shown]
	s_waitcnt lgkmcnt(0)                                       // 00000000733C: BF8CC07F
	s_barrier                                                  // 000000007340: BF8A0000
	ds_read_b32 v56, v21                                       // 000000007344: D86C0000 38000015
	ds_read_b32 v57, v21 offset:64                             // 00000000734C: D86C0040 39000015
	ds_read_b32 v60, v21 offset:2176                           // 000000007354: D86C0880 3C000015
	ds_read_b32 v61, v21 offset:2240                           // 00000000735C: D86C08C0 3D000015
	ds_read_b32 v64, v21 offset:4352                           // 000000007364: D86C1100 40000015
	ds_read_b32 v65, v21 offset:4416                           // 00000000736C: D86C1140 41000015
	ds_read_b32 v68, v21 offset:6528                           // 000000007374: D86C1980 44000015
	ds_read_b32 v69, v21 offset:6592                           // 00000000737C: D86C19C0 45000015
	ds_read_b32 v72, v21 offset:8704                           // 000000007384: D86C2200 48000015
	ds_read_b32 v73, v21 offset:8768                           // 00000000738C: D86C2240 49000015
	ds_read_b32 v76, v21 offset:10880                          // 000000007394: D86C2A80 4C000015
	ds_read_b32 v77, v21 offset:10944                          // 00000000739C: D86C2AC0 4D000015
	ds_read_b32 v80, v21 offset:13056                          // 0000000073A4: D86C3300 50000015
	ds_read_b32 v81, v21 offset:13120                          // 0000000073AC: D86C3340 51000015
	ds_read_b32 v84, v21 offset:15232                          // 0000000073B4: D86C3B80 54000015
	ds_read_b32 v85, v21 offset:15296                          // 0000000073BC: D86C3BC0 55000015
	ds_read_b32 v88, v21 offset:17408                          // 0000000073C4: D86C4400 58000015
	ds_read_b32 v89, v21 offset:17472                          // 0000000073CC: D86C4440 59000015
	ds_read_b32 v92, v21 offset:19584                          // 0000000073D4: D86C4C80 5C000015
	ds_read_b32 v93, v21 offset:19648                          // 0000000073DC: D86C4CC0 5D000015
	ds_read_b32 v96, v21 offset:21760                          // 0000000073E4: D86C5500 60000015
	ds_read_b32 v97, v21 offset:21824                          // 0000000073EC: D86C5540 61000015
	ds_read_b32 v100, v21 offset:23936                         // 0000000073F4: D86C5D80 64000015
	ds_read_b32 v101, v21 offset:24000                         // 0000000073FC: D86C5DC0 65000015
	ds_read_b32 v104, v21 offset:26112                         // 000000007404: D86C6600 68000015
	ds_read_b32 v105, v21 offset:26176                         // 00000000740C: D86C6640 69000015
	ds_read_b32 v108, v21 offset:28288                         // 000000007414: D86C6E80 6C000015
	ds_read_b32 v109, v21 offset:28352                         // 00000000741C: D86C6EC0 6D000015
	ds_read_b32 v112, v21 offset:30464                         // 000000007424: D86C7700 70000015
	ds_read_b32 v113, v21 offset:30528                         // 00000000742C: D86C7740 71000015
	ds_read_b32 v116, v21 offset:32640                         // 000000007434: D86C7F80 74000015
	ds_read_b32 v117, v21 offset:32704                         // 00000000743C: D86C7FC0 75000015
	s_waitcnt lgkmcnt(0)                                       // 000000007444: BF8CC07F
	s_mov_b32 s36, -1                                          // 000000007448: BEA400C1
	s_mov_b32 s37, -1                                          // 00000000744C: BEA500C1
	v_mov_b32_e32 v7, 0                                        // 000000007450: 7E0E0280
	s_mov_b64 exec, s[36:37]                                   // 000000007454: BEFE0124
	v_mov_b32_e32 v6, v44                                      // 000000007458: 7E0C032C
	s_mov_b64 s[60:61], 0                                      // 00000000745C: BEBC0180
	v_readlane_b32 s82, v3, 0                                  // 000000007460: D2890052 00010103
	s_and_b32 s82, s82, 0xffffff                               // 000000007468: 8652FF52 00FFFFFF
	s_cmp_lt_u32 s82, s66                                      // 000000007470: BF0A4252
	s_cselect_b32 s20, s36, s60                                // 000000007474: 85143C24
	v_readlane_b32 s82, v3, 1                                  // 000000007478: D2890052 00010303
	s_and_b32 s82, s82, 0xffffff                               // 000000007480: 8652FF52 00FFFFFF
	s_cmp_lt_u32 s82, s66                                      // 000000007488: BF0A4252
	s_cselect_b32 s21, s36, s60                                // 00000000748C: 85153C24
	s_mov_b64 exec, s[20:21]                                   // 000000007490: BEFE0114
	global_atomic_add_f32 v6, v56, s[8:9]                      // 000000007494: DD348000 00083806
	global_atomic_add_f32 v6, v60, s[8:9] offset:256           // 00000000749C: DD348100 00083C06
	global_atomic_add_f32 v6, v64, s[8:9] offset:512           // 0000000074A4: DD348200 00084006
	global_atomic_add_f32 v6, v68, s[8:9] offset:768           // 0000000074AC: DD348300 00084406
	s_mov_b64 exec, s[36:37]                                   // 0000000074B4: BEFE0124
	v_mov_b32_e32 v6, v45                                      // 0000000074B8: 7E0C032D
	s_mov_b64 s[60:61], 0                                      // 0000000074BC: BEBC0180
	v_readlane_b32 s82, v3, 2                                  // 0000000074C0: D2890052 00010503
	s_and_b32 s82, s82, 0xffffff                               // 0000000074C8: 8652FF52 00FFFFFF
	s_cmp_lt_u32 s82, s66                                      // 0000000074D0: BF0A4252
	s_cselect_b32 s20, s36, s60                                // 0000000074D4: 85143C24
	v_readlane_b32 s82, v3, 3                                  // 0000000074D8: D2890052 00010703
	s_and_b32 s82, s82, 0xffffff                               // 0000000074E0: 8652FF52 00FFFFFF
	s_cmp_lt_u32 s82, s66                                      // 0000000074E8: BF0A4252
	s_cselect_b32 s21, s36, s60                                // 0000000074EC: 85153C24
	s_mov_b64 exec, s[20:21]                                   // 0000000074F0: BEFE0114
	global_atomic_add_f32 v6, v57, s[8:9]                      // 0000000074F4: DD348000 00083906
	global_atomic_add_f32 v6, v61, s[8:9] offset:256           // 0000000074FC: DD348100 00083D06
	global_atomic_add_f32 v6, v65, s[8:9] offset:512           // 000000007504: DD348200 00084106
	global_atomic_add_f32 v6, v69, s[8:9] offset:768           // 00000000750C: DD348300 00084506
	s_mov_b64 exec, s[36:37]                                   // 000000007514: BEFE0124
	v_mov_b32_e32 v6, v46                                      // 000000007518: 7E0C032E
	s_mov_b64 s[60:61], 0                                      // 00000000751C: BEBC0180
	v_readlane_b32 s82, v3, 4                                  // 000000007520: D2890052 00010903
	s_and_b32 s82, s82, 0xffffff                               // 000000007528: 8652FF52 00FFFFFF
	s_cmp_lt_u32 s82, s66                                      // 000000007530: BF0A4252
	s_cselect_b32 s20, s36, s60                                // 000000007534: 85143C24
	v_readlane_b32 s82, v3, 5                                  // 000000007538: D2890052 00010B03
	s_and_b32 s82, s82, 0xffffff                               // 000000007540: 8652FF52 00FFFFFF
	s_cmp_lt_u32 s82, s66                                      // 000000007548: BF0A4252
	s_cselect_b32 s21, s36, s60                                // 00000000754C: 85153C24
	s_mov_b64 exec, s[20:21]                                   // 000000007550: BEFE0114
	global_atomic_add_f32 v6, v72, s[8:9]                      // 000000007554: DD348000 00084806
	global_atomic_add_f32 v6, v76, s[8:9] offset:256           // 00000000755C: DD348100 00084C06
	global_atomic_add_f32 v6, v80, s[8:9] offset:512           // 000000007564: DD348200 00085006
	global_atomic_add_f32 v6, v84, s[8:9] offset:768           // 00000000756C: DD348300 00085406
	s_mov_b64 exec, s[36:37]                                   // 000000007574: BEFE0124
	v_mov_b32_e32 v6, v47                                      // 000000007578: 7E0C032F
	s_mov_b64 s[60:61], 0                                      // 00000000757C: BEBC0180
	v_readlane_b32 s82, v3, 6                                  // 000000007580: D2890052 00010D03
	s_and_b32 s82, s82, 0xffffff                               // 000000007588: 8652FF52 00FFFFFF
	s_cmp_lt_u32 s82, s66                                      // 000000007590: BF0A4252
	s_cselect_b32 s20, s36, s60                                // 000000007594: 85143C24
	v_readlane_b32 s82, v3, 7                                  // 000000007598: D2890052 00010F03
	s_and_b32 s82, s82, 0xffffff                               // 0000000075A0: 8652FF52 00FFFFFF
	s_cmp_lt_u32 s82, s66                                      // 0000000075A8: BF0A4252
	s_cselect_b32 s21, s36, s60                                // 0000000075AC: 85153C24
	s_mov_b64 exec, s[20:21]                                   // 0000000075B0: BEFE0114
	global_atomic_add_f32 v6, v73, s[8:9]                      // 0000000075B4: DD348000 00084906
	global_atomic_add_f32 v6, v77, s[8:9] offset:256           // 0000000075BC: DD348100 00084D06
	global_atomic_add_f32 v6, v81, s[8:9] offset:512           // 0000000075C4: DD348200 00085106
	global_atomic_add_f32 v6, v85, s[8:9] offset:768           // 0000000075CC: DD348300 00085506
	s_mov_b64 exec, s[36:37]                                   // 0000000075D4: BEFE0124
	v_mov_b32_e32 v6, v48                                      // 0000000075D8: 7E0C0330
	s_mov_b64 s[60:61], 0                                      // 0000000075DC: BEBC0180
	v_readlane_b32 s82, v3, 8                                  // 0000000075E0: D2890052 00011103
	s_and_b32 s82, s82, 0xffffff                               // 0000000075E8: 8652FF52 00FFFFFF
	s_cmp_lt_u32 s82, s66                                      // 0000000075F0: BF0A4252
	s_cselect_b32 s20, s36, s60                                // 0000000075F4: 85143C24
	v_readlane_b32 s82, v3, 9                                  // 0000000075F8: D2890052 00011303
	s_and_b32 s82, s82, 0xffffff                               // 000000007600: 8652FF52 00FFFFFF
	s_cmp_lt_u32 s82, s66                                      // 000000007608: BF0A4252
	s_cselect_b32 s21, s36, s60                                // 00000000760C: 85153C24
	s_mov_b64 exec, s[20:21]                                   // 000000007610: BEFE0114
	global_atomic_add_f32 v6, v88, s[8:9]                      // 000000007614: DD348000 00085806
	global_atomic_add_f32 v6, v92, s[8:9] offset:256           // 00000000761C: DD348100 00085C06
	global_atomic_add_f32 v6, v96, s[8:9] offset:512           // 000000007624: DD348200 00086006
	global_atomic_add_f32 v6, v100, s[8:9] offset:768          // 00000000762C: DD348300 00086406
	s_mov_b64 exec, s[36:37]                                   // 000000007634: BEFE0124
	v_mov_b32_e32 v6, v49                                      // 000000007638: 7E0C0331
	s_mov_b64 s[60:61], 0                                      // 00000000763C: BEBC0180
	v_readlane_b32 s82, v3, 10                                 // 000000007640: D2890052 00011503
	s_and_b32 s82, s82, 0xffffff                               // 000000007648: 8652FF52 00FFFFFF
	s_cmp_lt_u32 s82, s66                                      // 000000007650: BF0A4252
	s_cselect_b32 s20, s36, s60                                // 000000007654: 85143C24
	v_readlane_b32 s82, v3, 11                                 // 000000007658: D2890052 00011703
	s_and_b32 s82, s82, 0xffffff                               // 000000007660: 8652FF52 00FFFFFF
	s_cmp_lt_u32 s82, s66                                      // 000000007668: BF0A4252
	s_cselect_b32 s21, s36, s60                                // 00000000766C: 85153C24
	s_mov_b64 exec, s[20:21]                                   // 000000007670: BEFE0114
	global_atomic_add_f32 v6, v89, s[8:9]                      // 000000007674: DD348000 00085906
	global_atomic_add_f32 v6, v93, s[8:9] offset:256           // 00000000767C: DD348100 00085D06
	global_atomic_add_f32 v6, v97, s[8:9] offset:512           // 000000007684: DD348200 00086106
	global_atomic_add_f32 v6, v101, s[8:9] offset:768          // 00000000768C: DD348300 00086506
	s_mov_b64 exec, s[36:37]                                   // 000000007694: BEFE0124
	v_mov_b32_e32 v6, v50                                      // 000000007698: 7E0C0332
	s_mov_b64 s[60:61], 0                                      // 00000000769C: BEBC0180
	v_readlane_b32 s82, v3, 12                                 // 0000000076A0: D2890052 00011903
	s_and_b32 s82, s82, 0xffffff                               // 0000000076A8: 8652FF52 00FFFFFF
	s_cmp_lt_u32 s82, s66                                      // 0000000076B0: BF0A4252
	s_cselect_b32 s20, s36, s60                                // 0000000076B4: 85143C24
	v_readlane_b32 s82, v3, 13                                 // 0000000076B8: D2890052 00011B03
	s_and_b32 s82, s82, 0xffffff                               // 0000000076C0: 8652FF52 00FFFFFF
	s_cmp_lt_u32 s82, s66                                      // 0000000076C8: BF0A4252
	s_cselect_b32 s21, s36, s60                                // 0000000076CC: 85153C24
	s_mov_b64 exec, s[20:21]                                   // 0000000076D0: BEFE0114
	global_atomic_add_f32 v6, v104, s[8:9]                     // 0000000076D4: DD348000 00086806
	global_atomic_add_f32 v6, v108, s[8:9] offset:256          // 0000000076DC: DD348100 00086C06
	global_atomic_add_f32 v6, v112, s[8:9] offset:512          // 0000000076E4: DD348200 00087006
	global_atomic_add_f32 v6, v116, s[8:9] offset:768          // 0000000076EC: DD348300 00087406
	s_mov_b64 exec, s[36:37]                                   // 0000000076F4: BEFE0124
	v_mov_b32_e32 v6, v51                                      // 0000000076F8: 7E0C0333
	s_mov_b64 s[60:61], 0                                      // 0000000076FC: BEBC0180
	v_readlane_b32 s82, v3, 14                                 // 000000007700: D2890052 00011D03
	s_and_b32 s82, s82, 0xffffff                               // 000000007708: 8652FF52 00FFFFFF
	s_cmp_lt_u32 s82, s66                                      // 000000007710: BF0A4252
	s_cselect_b32 s20, s36, s60                                // 000000007714: 85143C24
	v_readlane_b32 s82, v3, 15                                 // 000000007718: D2890052 00011F03
	s_and_b32 s82, s82, 0xffffff                               // 000000007720: 8652FF52 00FFFFFF
	s_cmp_lt_u32 s82, s66                                      // 000000007728: BF0A4252
	s_cselect_b32 s21, s36, s60                                // 00000000772C: 85153C24
	s_mov_b64 exec, s[20:21]                                   // 000000007730: BEFE0114
	global_atomic_add_f32 v6, v105, s[8:9]                     // 000000007734: DD348000 00086906
	global_atomic_add_f32 v6, v109, s[8:9] offset:256          // 00000000773C: DD348100 00086D06
	global_atomic_add_f32 v6, v113, s[8:9] offset:512          // 000000007744: DD348200 00087106
	global_atomic_add_f32 v6, v117, s[8:9] offset:768          // 00000000774C: DD348300 00087506
	s_mov_b64 exec, s[36:37]                                   // 000000007754: BEFE0124
	ds_write_b64 v20, v[58:59]                                 // 000000007758: D89A0000 00003A14
	ds_write_b64 v20, v[62:63] offset:8704                     // 000000007760: D89A2200 00003E14
	ds_write_b64 v20, v[66:67] offset:17408                    // 000000007768: D89A4400 00004214
	ds_write_b64 v20, v[70:71] offset:26112                    // 000000007770: D89A6600 00004614
	ds_write_b64 v20, v[74:75] offset:2176                     // 000000007778: D89A0880 00004A14
	ds_write_b64 v20, v[78:79] offset:10880                    // 000000007780: D89A2A80 00004E14
	ds_write_b64 v20, v[82:83] offset:19584                    // 000000007788: D89A4C80 00005214
	ds_write_b64 v20, v[86:87] offset:28288                    // 000000007790: D89A6E80 00005614
	ds_write_b64 v20, v[90:91] offset:4352                     // 000000007798: D89A1100 00005A14
	ds_write_b64 v20, v[94:95] offset:13056                    // 0000000077A0: D89A3300 00005E14
	ds_write_b64 v20, v[98:99] offset:21760                    // 0000000077A8: D89A5500 00006214
	ds_write_b64 v20, v[102:103] offset:30464                  // 0000000077B0: D89A7700 00006614
	ds_write_b64 v20, v[106:107] offset:6528                   // 0000000077B8: D89A1980 00006A14
	ds_write_b64 v20, v[110:111] offset:15232                  // 0000000077C0: D89A3B80 00006E14
	ds_write_b64 v20, v[114:115] offset:23936                  // 0000000077C8: D89A5D80 00007214
	ds_write_b64 v20, v[118:119] offset:32640                  // 0000000077D0: D89A7F80 00007614
	s_waitcnt lgkmcnt(0)                                       // 0000000077D8: BF8CC07F
	s_barrier                                                  // 0000000077DC: BF8A0000
	ds_read_b32 v58, v21                                       // 0000000077E0: D86C0000 3A000015
	ds_read_b32 v59, v21 offset:64                             // 0000000077E8: D86C0040 3B000015
	ds_read_b32 v62, v21 offset:2176                           // 0000000077F0: D86C0880 3E000015
	ds_read_b32 v63, v21 offset:2240                           // 0000000077F8: D86C08C0 3F000015
	ds_read_b32 v66, v21 offset:4352                           // 000000007800: D86C1100 42000015
	ds_read_b32 v67, v21 offset:4416                           // 000000007808: D86C1140 43000015
	ds_read_b32 v70, v21 offset:6528                           // 000000007810: D86C1980 46000015
	ds_read_b32 v71, v21 offset:6592                           // 000000007818: D86C19C0 47000015
	ds_read_b32 v74, v21 offset:8704                           // 000000007820: D86C2200 4A000015
	ds_read_b32 v75, v21 offset:8768                           // 000000007828: D86C2240 4B000015
	ds_read_b32 v78, v21 offset:10880                          // 000000007830: D86C2A80 4E000015
	ds_read_b32 v79, v21 offset:10944                          // 000000007838: D86C2AC0 4F000015
	ds_read_b32 v82, v21 offset:13056                          // 000000007840: D86C3300 52000015
	ds_read_b32 v83, v21 offset:13120                          // 000000007848: D86C3340 53000015
	ds_read_b32 v86, v21 offset:15232                          // 000000007850: D86C3B80 56000015
	ds_read_b32 v87, v21 offset:15296                          // 000000007858: D86C3BC0 57000015
	ds_read_b32 v90, v21 offset:17408                          // 000000007860: D86C4400 5A000015
	ds_read_b32 v91, v21 offset:17472                          // 000000007868: D86C4440 5B000015
	ds_read_b32 v94, v21 offset:19584                          // 000000007870: D86C4C80 5E000015
	ds_read_b32 v95, v21 offset:19648                          // 000000007878: D86C4CC0 5F000015
	ds_read_b32 v98, v21 offset:21760                          // 000000007880: D86C5500 62000015
	ds_read_b32 v99, v21 offset:21824                          // 000000007888: D86C5540 63000015
	ds_read_b32 v102, v21 offset:23936                         // 000000007890: D86C5D80 66000015
	ds_read_b32 v103, v21 offset:24000                         // 000000007898: D86C5DC0 67000015
	ds_read_b32 v106, v21 offset:26112                         // 0000000078A0: D86C6600 6A000015
	ds_read_b32 v107, v21 offset:26176                         // 0000000078A8: D86C6640 6B000015
	ds_read_b32 v110, v21 offset:28288                         // 0000000078B0: D86C6E80 6E000015
	ds_read_b32 v111, v21 offset:28352                         // 0000000078B8: D86C6EC0 6F000015
	ds_read_b32 v114, v21 offset:30464                         // 0000000078C0: D86C7700 72000015
	ds_read_b32 v115, v21 offset:30528                         // 0000000078C8: D86C7740 73000015
	ds_read_b32 v118, v21 offset:32640                         // 0000000078D0: D86C7F80 76000015
	ds_read_b32 v119, v21 offset:32704                         // 0000000078D8: D86C7FC0 77000015
	s_waitcnt lgkmcnt(0)                                       // 0000000078E0: BF8CC07F
	v_mov_b32_e32 v7, 0                                        // 0000000078E4: 7E0E0280
	s_mov_b64 exec, s[36:37]                                   // 0000000078E8: BEFE0124
	v_mov_b32_e32 v6, v44                                      // 0000000078EC: 7E0C032C
	s_mov_b64 s[60:61], 0                                      // 0000000078F0: BEBC0180
	v_readlane_b32 s82, v3, 0                                  // 0000000078F4: D2890052 00010103
	s_and_b32 s82, s82, 0xffffff                               // 0000000078FC: 8652FF52 00FFFFFF
	s_cmp_lt_u32 s82, s66                                      // 000000007904: BF0A4252
	s_cselect_b32 s20, s36, s60                                // 000000007908: 85143C24
	v_readlane_b32 s82, v3, 1                                  // 00000000790C: D2890052 00010303
	s_and_b32 s82, s82, 0xffffff                               // 000000007914: 8652FF52 00FFFFFF
	s_cmp_lt_u32 s82, s66                                      // 00000000791C: BF0A4252
	s_cselect_b32 s21, s36, s60                                // 000000007920: 85153C24
	s_mov_b64 exec, s[20:21]                                   // 000000007924: BEFE0114
	global_atomic_add_f32 v6, v58, s[8:9] offset:8             // 000000007928: DD348008 00083A06
	global_atomic_add_f32 v6, v62, s[8:9] offset:264           // 000000007930: DD348108 00083E06
	global_atomic_add_f32 v6, v66, s[8:9] offset:520           // 000000007938: DD348208 00084206
	global_atomic_add_f32 v6, v70, s[8:9] offset:776           // 000000007940: DD348308 00084606
	s_mov_b64 exec, s[36:37]                                   // 000000007948: BEFE0124
	v_mov_b32_e32 v6, v45                                      // 00000000794C: 7E0C032D
	s_mov_b64 s[60:61], 0                                      // 000000007950: BEBC0180
	v_readlane_b32 s82, v3, 2                                  // 000000007954: D2890052 00010503
	s_and_b32 s82, s82, 0xffffff                               // 00000000795C: 8652FF52 00FFFFFF
	s_cmp_lt_u32 s82, s66                                      // 000000007964: BF0A4252
	s_cselect_b32 s20, s36, s60                                // 000000007968: 85143C24
	v_readlane_b32 s82, v3, 3                                  // 00000000796C: D2890052 00010703
	s_and_b32 s82, s82, 0xffffff                               // 000000007974: 8652FF52 00FFFFFF
	s_cmp_lt_u32 s82, s66                                      // 00000000797C: BF0A4252
	s_cselect_b32 s21, s36, s60                                // 000000007980: 85153C24
	s_mov_b64 exec, s[20:21]                                   // 000000007984: BEFE0114
	global_atomic_add_f32 v6, v59, s[8:9] offset:8             // 000000007988: DD348008 00083B06
	global_atomic_add_f32 v6, v63, s[8:9] offset:264           // 000000007990: DD348108 00083F06
	global_atomic_add_f32 v6, v67, s[8:9] offset:520           // 000000007998: DD348208 00084306
	global_atomic_add_f32 v6, v71, s[8:9] offset:776           // 0000000079A0: DD348308 00084706
	s_mov_b64 exec, s[36:37]                                   // 0000000079A8: BEFE0124
	v_mov_b32_e32 v6, v46                                      // 0000000079AC: 7E0C032E
	s_mov_b64 s[60:61], 0                                      // 0000000079B0: BEBC0180
	v_readlane_b32 s82, v3, 4                                  // 0000000079B4: D2890052 00010903
	s_and_b32 s82, s82, 0xffffff                               // 0000000079BC: 8652FF52 00FFFFFF
	s_cmp_lt_u32 s82, s66                                      // 0000000079C4: BF0A4252
	s_cselect_b32 s20, s36, s60                                // 0000000079C8: 85143C24
	v_readlane_b32 s82, v3, 5                                  // 0000000079CC: D2890052 00010B03
	s_and_b32 s82, s82, 0xffffff                               // 0000000079D4: 8652FF52 00FFFFFF
	s_cmp_lt_u32 s82, s66                                      // 0000000079DC: BF0A4252
	s_cselect_b32 s21, s36, s60                                // 0000000079E0: 85153C24
	s_mov_b64 exec, s[20:21]                                   // 0000000079E4: BEFE0114
	global_atomic_add_f32 v6, v74, s[8:9] offset:8             // 0000000079E8: DD348008 00084A06
	global_atomic_add_f32 v6, v78, s[8:9] offset:264           // 0000000079F0: DD348108 00084E06
	global_atomic_add_f32 v6, v82, s[8:9] offset:520           // 0000000079F8: DD348208 00085206
	global_atomic_add_f32 v6, v86, s[8:9] offset:776           // 000000007A00: DD348308 00085606
	s_mov_b64 exec, s[36:37]                                   // 000000007A08: BEFE0124
	v_mov_b32_e32 v6, v47                                      // 000000007A0C: 7E0C032F
	s_mov_b64 s[60:61], 0                                      // 000000007A10: BEBC0180
	v_readlane_b32 s82, v3, 6                                  // 000000007A14: D2890052 00010D03
	s_and_b32 s82, s82, 0xffffff                               // 000000007A1C: 8652FF52 00FFFFFF
	s_cmp_lt_u32 s82, s66                                      // 000000007A24: BF0A4252
	s_cselect_b32 s20, s36, s60                                // 000000007A28: 85143C24
	v_readlane_b32 s82, v3, 7                                  // 000000007A2C: D2890052 00010F03
	s_and_b32 s82, s82, 0xffffff                               // 000000007A34: 8652FF52 00FFFFFF
	s_cmp_lt_u32 s82, s66                                      // 000000007A3C: BF0A4252
	s_cselect_b32 s21, s36, s60                                // 000000007A40: 85153C24
	s_mov_b64 exec, s[20:21]                                   // 000000007A44: BEFE0114
	global_atomic_add_f32 v6, v75, s[8:9] offset:8             // 000000007A48: DD348008 00084B06
	global_atomic_add_f32 v6, v79, s[8:9] offset:264           // 000000007A50: DD348108 00084F06
	global_atomic_add_f32 v6, v83, s[8:9] offset:520           // 000000007A58: DD348208 00085306
	global_atomic_add_f32 v6, v87, s[8:9] offset:776           // 000000007A60: DD348308 00085706
	s_mov_b64 exec, s[36:37]                                   // 000000007A68: BEFE0124
	v_mov_b32_e32 v6, v48                                      // 000000007A6C: 7E0C0330
	s_mov_b64 s[60:61], 0                                      // 000000007A70: BEBC0180
	v_readlane_b32 s82, v3, 8                                  // 000000007A74: D2890052 00011103
	s_and_b32 s82, s82, 0xffffff                               // 000000007A7C: 8652FF52 00FFFFFF
	s_cmp_lt_u32 s82, s66                                      // 000000007A84: BF0A4252
	s_cselect_b32 s20, s36, s60                                // 000000007A88: 85143C24
	v_readlane_b32 s82, v3, 9                                  // 000000007A8C: D2890052 00011303
	s_and_b32 s82, s82, 0xffffff                               // 000000007A94: 8652FF52 00FFFFFF
	s_cmp_lt_u32 s82, s66                                      // 000000007A9C: BF0A4252
	s_cselect_b32 s21, s36, s60                                // 000000007AA0: 85153C24
	s_mov_b64 exec, s[20:21]                                   // 000000007AA4: BEFE0114
	global_atomic_add_f32 v6, v90, s[8:9] offset:8             // 000000007AA8: DD348008 00085A06
	global_atomic_add_f32 v6, v94, s[8:9] offset:264           // 000000007AB0: DD348108 00085E06
	global_atomic_add_f32 v6, v98, s[8:9] offset:520           // 000000007AB8: DD348208 00086206
	global_atomic_add_f32 v6, v102, s[8:9] offset:776          // 000000007AC0: DD348308 00086606
	s_mov_b64 exec, s[36:37]                                   // 000000007AC8: BEFE0124
	v_mov_b32_e32 v6, v49                                      // 000000007ACC: 7E0C0331
	s_mov_b64 s[60:61], 0                                      // 000000007AD0: BEBC0180
	v_readlane_b32 s82, v3, 10                                 // 000000007AD4: D2890052 00011503
	s_and_b32 s82, s82, 0xffffff                               // 000000007ADC: 8652FF52 00FFFFFF
	s_cmp_lt_u32 s82, s66                                      // 000000007AE4: BF0A4252
	s_cselect_b32 s20, s36, s60                                // 000000007AE8: 85143C24
	v_readlane_b32 s82, v3, 11                                 // 000000007AEC: D2890052 00011703
	s_and_b32 s82, s82, 0xffffff                               // 000000007AF4: 8652FF52 00FFFFFF
	s_cmp_lt_u32 s82, s66                                      // 000000007AFC: BF0A4252
	s_cselect_b32 s21, s36, s60                                // 000000007B00: 85153C24
	s_mov_b64 exec, s[20:21]                                   // 000000007B04: BEFE0114
	global_atomic_add_f32 v6, v91, s[8:9] offset:8             // 000000007B08: DD348008 00085B06
	global_atomic_add_f32 v6, v95, s[8:9] offset:264           // 000000007B10: DD348108 00085F06
	global_atomic_add_f32 v6, v99, s[8:9] offset:520           // 000000007B18: DD348208 00086306
	global_atomic_add_f32 v6, v103, s[8:9] offset:776          // 000000007B20: DD348308 00086706
	s_mov_b64 exec, s[36:37]                                   // 000000007B28: BEFE0124
	v_mov_b32_e32 v6, v50                                      // 000000007B2C: 7E0C0332
	s_mov_b64 s[60:61], 0                                      // 000000007B30: BEBC0180
	v_readlane_b32 s82, v3, 12                                 // 000000007B34: D2890052 00011903
	s_and_b32 s82, s82, 0xffffff                               // 000000007B3C: 8652FF52 00FFFFFF
	s_cmp_lt_u32 s82, s66                                      // 000000007B44: BF0A4252
	s_cselect_b32 s20, s36, s60                                // 000000007B48: 85143C24
	v_readlane_b32 s82, v3, 13                                 // 000000007B4C: D2890052 00011B03
	s_and_b32 s82, s82, 0xffffff                               // 000000007B54: 8652FF52 00FFFFFF
	s_cmp_lt_u32 s82, s66                                      // 000000007B5C: BF0A4252
	s_cselect_b32 s21, s36, s60                                // 000000007B60: 85153C24
	s_mov_b64 exec, s[20:21]                                   // 000000007B64: BEFE0114
	global_atomic_add_f32 v6, v106, s[8:9] offset:8            // 000000007B68: DD348008 00086A06
	global_atomic_add_f32 v6, v110, s[8:9] offset:264          // 000000007B70: DD348108 00086E06
	global_atomic_add_f32 v6, v114, s[8:9] offset:520          // 000000007B78: DD348208 00087206
	global_atomic_add_f32 v6, v118, s[8:9] offset:776          // 000000007B80: DD348308 00087606
	s_mov_b64 exec, s[36:37]                                   // 000000007B88: BEFE0124
	v_mov_b32_e32 v6, v51                                      // 000000007B8C: 7E0C0333
	s_mov_b64 s[60:61], 0                                      // 000000007B90: BEBC0180
	v_readlane_b32 s82, v3, 14                                 // 000000007B94: D2890052 00011D03
	s_and_b32 s82, s82, 0xffffff                               // 000000007B9C: 8652FF52 00FFFFFF
	s_cmp_lt_u32 s82, s66                                      // 000000007BA4: BF0A4252
	s_cselect_b32 s20, s36, s60                                // 000000007BA8: 85143C24
	v_readlane_b32 s82, v3, 15                                 // 000000007BAC: D2890052 00011F03
	s_and_b32 s82, s82, 0xffffff                               // 000000007BB4: 8652FF52 00FFFFFF
	s_cmp_lt_u32 s82, s66                                      // 000000007BBC: BF0A4252
	s_cselect_b32 s21, s36, s60                                // 000000007BC0: 85153C24
	s_mov_b64 exec, s[20:21]                                   // 000000007BC4: BEFE0114
	global_atomic_add_f32 v6, v107, s[8:9] offset:8            // 000000007BC8: DD348008 00086B06
	global_atomic_add_f32 v6, v111, s[8:9] offset:264          // 000000007BD0: DD348108 00086F06
	global_atomic_add_f32 v6, v115, s[8:9] offset:520          // 000000007BD8: DD348208 00087306
	global_atomic_add_f32 v6, v119, s[8:9] offset:776          // 000000007BE0: DD348308 00087706
	s_mov_b64 exec, s[36:37]                                   // 000000007BE8: BEFE0124
	ds_write_b64 v20, v[120:121]                               // 000000007BEC: D89A0000 00007814
	ds_write_b64 v20, v[124:125] offset:8704                   // 000000007BF4: D89A2200 00007C14
	ds_write_b64 v20, v[128:129] offset:17408                  // 000000007BFC: D89A4400 00008014
	ds_write_b64 v20, v[132:133] offset:26112                  // 000000007C04: D89A6600 00008414
	ds_write_b64 v20, v[136:137] offset:2176                   // 000000007C0C: D89A0880 00008814
	ds_write_b64 v20, v[140:141] offset:10880                  // 000000007C14: D89A2A80 00008C14
	ds_write_b64 v20, v[144:145] offset:19584                  // 000000007C1C: D89A4C80 00009014
	ds_write_b64 v20, v[148:149] offset:28288                  // 000000007C24: D89A6E80 00009414
	ds_write_b64 v20, v[152:153] offset:4352                   // 000000007C2C: D89A1100 00009814
	ds_write_b64 v20, v[156:157] offset:13056                  // 000000007C34: D89A3300 00009C14
	ds_write_b64 v20, v[160:161] offset:21760                  // 000000007C3C: D89A5500 0000A014
	ds_write_b64 v20, v[164:165] offset:30464                  // 000000007C44: D89A7700 0000A414
	ds_write_b64 v20, v[168:169] offset:6528                   // 000000007C4C: D89A1980 0000A814
	ds_write_b64 v20, v[172:173] offset:15232                  // 000000007C54: D89A3B80 0000AC14
	ds_write_b64 v20, v[176:177] offset:23936                  // 000000007C5C: D89A5D80 0000B014
	ds_write_b64 v20, v[180:181] offset:32640                  // 000000007C64: D89A7F80 0000B414
	s_waitcnt lgkmcnt(0)                                       // 000000007C6C: BF8CC07F
	s_barrier                                                  // 000000007C70: BF8A0000
	ds_read_b32 v120, v21                                      // 000000007C74: D86C0000 78000015
	ds_read_b32 v121, v21 offset:64                            // 000000007C7C: D86C0040 79000015
	ds_read_b32 v124, v21 offset:2176                          // 000000007C84: D86C0880 7C000015
	ds_read_b32 v125, v21 offset:2240                          // 000000007C8C: D86C08C0 7D000015
	ds_read_b32 v128, v21 offset:4352                          // 000000007C94: D86C1100 80000015
	ds_read_b32 v129, v21 offset:4416                          // 000000007C9C: D86C1140 81000015
	ds_read_b32 v132, v21 offset:6528                          // 000000007CA4: D86C1980 84000015
	ds_read_b32 v133, v21 offset:6592                          // 000000007CAC: D86C19C0 85000015
	ds_read_b32 v136, v21 offset:8704                          // 000000007CB4: D86C2200 88000015
	ds_read_b32 v137, v21 offset:8768                          // 000000007CBC: D86C2240 89000015
	ds_read_b32 v140, v21 offset:10880                         // 000000007CC4: D86C2A80 8C000015
	ds_read_b32 v141, v21 offset:10944                         // 000000007CCC: D86C2AC0 8D000015
	ds_read_b32 v144, v21 offset:13056                         // 000000007CD4: D86C3300 90000015
	ds_read_b32 v145, v21 offset:13120                         // 000000007CDC: D86C3340 91000015
	ds_read_b32 v148, v21 offset:15232                         // 000000007CE4: D86C3B80 94000015
	ds_read_b32 v149, v21 offset:15296                         // 000000007CEC: D86C3BC0 95000015
	ds_read_b32 v152, v21 offset:17408                         // 000000007CF4: D86C4400 98000015
	ds_read_b32 v153, v21 offset:17472                         // 000000007CFC: D86C4440 99000015
	ds_read_b32 v156, v21 offset:19584                         // 000000007D04: D86C4C80 9C000015
	ds_read_b32 v157, v21 offset:19648                         // 000000007D0C: D86C4CC0 9D000015
	ds_read_b32 v160, v21 offset:21760                         // 000000007D14: D86C5500 A0000015
	ds_read_b32 v161, v21 offset:21824                         // 000000007D1C: D86C5540 A1000015
	ds_read_b32 v164, v21 offset:23936                         // 000000007D24: D86C5D80 A4000015
	ds_read_b32 v165, v21 offset:24000                         // 000000007D2C: D86C5DC0 A5000015
	ds_read_b32 v168, v21 offset:26112                         // 000000007D34: D86C6600 A8000015
	ds_read_b32 v169, v21 offset:26176                         // 000000007D3C: D86C6640 A9000015
	ds_read_b32 v172, v21 offset:28288                         // 000000007D44: D86C6E80 AC000015
	ds_read_b32 v173, v21 offset:28352                         // 000000007D4C: D86C6EC0 AD000015
	ds_read_b32 v176, v21 offset:30464                         // 000000007D54: D86C7700 B0000015
	ds_read_b32 v177, v21 offset:30528                         // 000000007D5C: D86C7740 B1000015
	ds_read_b32 v180, v21 offset:32640                         // 000000007D64: D86C7F80 B4000015
	ds_read_b32 v181, v21 offset:32704                         // 000000007D6C: D86C7FC0 B5000015
	s_mul_i32 s60, s65, 4                                      // 000000007D74: 923C8441
	s_add_u32 s8, s60, s8                                      // 000000007D78: 8008083C
	s_addc_u32 s9, 0, s9                                       // 000000007D7C: 82090980
	s_waitcnt lgkmcnt(0)                                       // 000000007D80: BF8CC07F
	v_mov_b32_e32 v7, 0                                        // 000000007D84: 7E0E0280
	s_mov_b64 exec, s[36:37]                                   // 000000007D88: BEFE0124
	v_mov_b32_e32 v6, v44                                      // 000000007D8C: 7E0C032C
	s_mov_b64 s[60:61], 0                                      // 000000007D90: BEBC0180
	v_readlane_b32 s82, v3, 0                                  // 000000007D94: D2890052 00010103
	s_and_b32 s82, s82, 0xffffff                               // 000000007D9C: 8652FF52 00FFFFFF
	s_cmp_lt_u32 s82, s66                                      // 000000007DA4: BF0A4252
	s_cselect_b32 s20, s36, s60                                // 000000007DA8: 85143C24
	v_readlane_b32 s82, v3, 1                                  // 000000007DAC: D2890052 00010303
	s_and_b32 s82, s82, 0xffffff                               // 000000007DB4: 8652FF52 00FFFFFF
	s_cmp_lt_u32 s82, s66                                      // 000000007DBC: BF0A4252
	s_cselect_b32 s21, s36, s60                                // 000000007DC0: 85153C24
	s_mov_b64 exec, s[20:21]                                   // 000000007DC4: BEFE0114
	global_atomic_add_f32 v6, v120, s[8:9]                     // 000000007DC8: DD348000 00087806
	global_atomic_add_f32 v6, v124, s[8:9] offset:256          // 000000007DD0: DD348100 00087C06
	global_atomic_add_f32 v6, v128, s[8:9] offset:512          // 000000007DD8: DD348200 00088006
	global_atomic_add_f32 v6, v132, s[8:9] offset:768          // 000000007DE0: DD348300 00088406
	s_mov_b64 exec, s[36:37]                                   // 000000007DE8: BEFE0124
	v_mov_b32_e32 v6, v45                                      // 000000007DEC: 7E0C032D
	s_mov_b64 s[60:61], 0                                      // 000000007DF0: BEBC0180
	v_readlane_b32 s82, v3, 2                                  // 000000007DF4: D2890052 00010503
	s_and_b32 s82, s82, 0xffffff                               // 000000007DFC: 8652FF52 00FFFFFF
	s_cmp_lt_u32 s82, s66                                      // 000000007E04: BF0A4252
	s_cselect_b32 s20, s36, s60                                // 000000007E08: 85143C24
	v_readlane_b32 s82, v3, 3                                  // 000000007E0C: D2890052 00010703
	s_and_b32 s82, s82, 0xffffff                               // 000000007E14: 8652FF52 00FFFFFF
	s_cmp_lt_u32 s82, s66                                      // 000000007E1C: BF0A4252
	s_cselect_b32 s21, s36, s60                                // 000000007E20: 85153C24
	s_mov_b64 exec, s[20:21]                                   // 000000007E24: BEFE0114
	global_atomic_add_f32 v6, v121, s[8:9]                     // 000000007E28: DD348000 00087906
	global_atomic_add_f32 v6, v125, s[8:9] offset:256          // 000000007E30: DD348100 00087D06
	global_atomic_add_f32 v6, v129, s[8:9] offset:512          // 000000007E38: DD348200 00088106
	global_atomic_add_f32 v6, v133, s[8:9] offset:768          // 000000007E40: DD348300 00088506
	s_mov_b64 exec, s[36:37]                                   // 000000007E48: BEFE0124
	v_mov_b32_e32 v6, v46                                      // 000000007E4C: 7E0C032E
	s_mov_b64 s[60:61], 0                                      // 000000007E50: BEBC0180
	v_readlane_b32 s82, v3, 4                                  // 000000007E54: D2890052 00010903
	s_and_b32 s82, s82, 0xffffff                               // 000000007E5C: 8652FF52 00FFFFFF
	s_cmp_lt_u32 s82, s66                                      // 000000007E64: BF0A4252
	s_cselect_b32 s20, s36, s60                                // 000000007E68: 85143C24
	v_readlane_b32 s82, v3, 5                                  // 000000007E6C: D2890052 00010B03
	s_and_b32 s82, s82, 0xffffff                               // 000000007E74: 8652FF52 00FFFFFF
	s_cmp_lt_u32 s82, s66                                      // 000000007E7C: BF0A4252
	s_cselect_b32 s21, s36, s60                                // 000000007E80: 85153C24
	s_mov_b64 exec, s[20:21]                                   // 000000007E84: BEFE0114
	global_atomic_add_f32 v6, v136, s[8:9]                     // 000000007E88: DD348000 00088806
	global_atomic_add_f32 v6, v140, s[8:9] offset:256          // 000000007E90: DD348100 00088C06
	global_atomic_add_f32 v6, v144, s[8:9] offset:512          // 000000007E98: DD348200 00089006
	global_atomic_add_f32 v6, v148, s[8:9] offset:768          // 000000007EA0: DD348300 00089406
	s_mov_b64 exec, s[36:37]                                   // 000000007EA8: BEFE0124
	v_mov_b32_e32 v6, v47                                      // 000000007EAC: 7E0C032F
	s_mov_b64 s[60:61], 0                                      // 000000007EB0: BEBC0180
	v_readlane_b32 s82, v3, 6                                  // 000000007EB4: D2890052 00010D03
	s_and_b32 s82, s82, 0xffffff                               // 000000007EBC: 8652FF52 00FFFFFF
	s_cmp_lt_u32 s82, s66                                      // 000000007EC4: BF0A4252
	s_cselect_b32 s20, s36, s60                                // 000000007EC8: 85143C24
	v_readlane_b32 s82, v3, 7                                  // 000000007ECC: D2890052 00010F03
	s_and_b32 s82, s82, 0xffffff                               // 000000007ED4: 8652FF52 00FFFFFF
	s_cmp_lt_u32 s82, s66                                      // 000000007EDC: BF0A4252
	s_cselect_b32 s21, s36, s60                                // 000000007EE0: 85153C24
	s_mov_b64 exec, s[20:21]                                   // 000000007EE4: BEFE0114
	global_atomic_add_f32 v6, v137, s[8:9]                     // 000000007EE8: DD348000 00088906
	global_atomic_add_f32 v6, v141, s[8:9] offset:256          // 000000007EF0: DD348100 00088D06
	global_atomic_add_f32 v6, v145, s[8:9] offset:512          // 000000007EF8: DD348200 00089106
	global_atomic_add_f32 v6, v149, s[8:9] offset:768          // 000000007F00: DD348300 00089506
	s_mov_b64 exec, s[36:37]                                   // 000000007F08: BEFE0124
	v_mov_b32_e32 v6, v48                                      // 000000007F0C: 7E0C0330
	s_mov_b64 s[60:61], 0                                      // 000000007F10: BEBC0180
	v_readlane_b32 s82, v3, 8                                  // 000000007F14: D2890052 00011103
	s_and_b32 s82, s82, 0xffffff                               // 000000007F1C: 8652FF52 00FFFFFF
	s_cmp_lt_u32 s82, s66                                      // 000000007F24: BF0A4252
	s_cselect_b32 s20, s36, s60                                // 000000007F28: 85143C24
	v_readlane_b32 s82, v3, 9                                  // 000000007F2C: D2890052 00011303
	s_and_b32 s82, s82, 0xffffff                               // 000000007F34: 8652FF52 00FFFFFF
	s_cmp_lt_u32 s82, s66                                      // 000000007F3C: BF0A4252
	s_cselect_b32 s21, s36, s60                                // 000000007F40: 85153C24
	s_mov_b64 exec, s[20:21]                                   // 000000007F44: BEFE0114
	global_atomic_add_f32 v6, v152, s[8:9]                     // 000000007F48: DD348000 00089806
	global_atomic_add_f32 v6, v156, s[8:9] offset:256          // 000000007F50: DD348100 00089C06
	global_atomic_add_f32 v6, v160, s[8:9] offset:512          // 000000007F58: DD348200 0008A006
	global_atomic_add_f32 v6, v164, s[8:9] offset:768          // 000000007F60: DD348300 0008A406
	s_mov_b64 exec, s[36:37]                                   // 000000007F68: BEFE0124
	v_mov_b32_e32 v6, v49                                      // 000000007F6C: 7E0C0331
	s_mov_b64 s[60:61], 0                                      // 000000007F70: BEBC0180
	v_readlane_b32 s82, v3, 10                                 // 000000007F74: D2890052 00011503
	s_and_b32 s82, s82, 0xffffff                               // 000000007F7C: 8652FF52 00FFFFFF
	s_cmp_lt_u32 s82, s66                                      // 000000007F84: BF0A4252
	s_cselect_b32 s20, s36, s60                                // 000000007F88: 85143C24
	v_readlane_b32 s82, v3, 11                                 // 000000007F8C: D2890052 00011703
	s_and_b32 s82, s82, 0xffffff                               // 000000007F94: 8652FF52 00FFFFFF
	s_cmp_lt_u32 s82, s66                                      // 000000007F9C: BF0A4252
	s_cselect_b32 s21, s36, s60                                // 000000007FA0: 85153C24
	s_mov_b64 exec, s[20:21]                                   // 000000007FA4: BEFE0114
	global_atomic_add_f32 v6, v153, s[8:9]                     // 000000007FA8: DD348000 00089906
	global_atomic_add_f32 v6, v157, s[8:9] offset:256          // 000000007FB0: DD348100 00089D06
	global_atomic_add_f32 v6, v161, s[8:9] offset:512          // 000000007FB8: DD348200 0008A106
	global_atomic_add_f32 v6, v165, s[8:9] offset:768          // 000000007FC0: DD348300 0008A506
	s_mov_b64 exec, s[36:37]                                   // 000000007FC8: BEFE0124
	v_mov_b32_e32 v6, v50                                      // 000000007FCC: 7E0C0332
	s_mov_b64 s[60:61], 0                                      // 000000007FD0: BEBC0180
	v_readlane_b32 s82, v3, 12                                 // 000000007FD4: D2890052 00011903
	s_and_b32 s82, s82, 0xffffff                               // 000000007FDC: 8652FF52 00FFFFFF
	s_cmp_lt_u32 s82, s66                                      // 000000007FE4: BF0A4252
	s_cselect_b32 s20, s36, s60                                // 000000007FE8: 85143C24
	v_readlane_b32 s82, v3, 13                                 // 000000007FEC: D2890052 00011B03
	s_and_b32 s82, s82, 0xffffff                               // 000000007FF4: 8652FF52 00FFFFFF
	s_cmp_lt_u32 s82, s66                                      // 000000007FFC: BF0A4252
	s_cselect_b32 s21, s36, s60                                // 000000008000: 85153C24
	s_mov_b64 exec, s[20:21]                                   // 000000008004: BEFE0114
	global_atomic_add_f32 v6, v168, s[8:9]                     // 000000008008: DD348000 0008A806
	global_atomic_add_f32 v6, v172, s[8:9] offset:256          // 000000008010: DD348100 0008AC06
	global_atomic_add_f32 v6, v176, s[8:9] offset:512          // 000000008018: DD348200 0008B006
	global_atomic_add_f32 v6, v180, s[8:9] offset:768          // 000000008020: DD348300 0008B406
	s_mov_b64 exec, s[36:37]                                   // 000000008028: BEFE0124
	v_mov_b32_e32 v6, v51                                      // 00000000802C: 7E0C0333
	s_mov_b64 s[60:61], 0                                      // 000000008030: BEBC0180
	v_readlane_b32 s82, v3, 14                                 // 000000008034: D2890052 00011D03
	s_and_b32 s82, s82, 0xffffff                               // 00000000803C: 8652FF52 00FFFFFF
	s_cmp_lt_u32 s82, s66                                      // 000000008044: BF0A4252
	s_cselect_b32 s20, s36, s60                                // 000000008048: 85143C24
	v_readlane_b32 s82, v3, 15                                 // 00000000804C: D2890052 00011F03
	s_and_b32 s82, s82, 0xffffff                               // 000000008054: 8652FF52 00FFFFFF
	s_cmp_lt_u32 s82, s66                                      // 00000000805C: BF0A4252
	s_cselect_b32 s21, s36, s60                                // 000000008060: 85153C24
	s_mov_b64 exec, s[20:21]                                   // 000000008064: BEFE0114
	global_atomic_add_f32 v6, v169, s[8:9]                     // 000000008068: DD348000 0008A906
	global_atomic_add_f32 v6, v173, s[8:9] offset:256          // 000000008070: DD348100 0008AD06
	global_atomic_add_f32 v6, v177, s[8:9] offset:512          // 000000008078: DD348200 0008B106
	global_atomic_add_f32 v6, v181, s[8:9] offset:768          // 000000008080: DD348300 0008B506
	s_mov_b64 exec, s[36:37]                                   // 000000008088: BEFE0124
	ds_write_b64 v20, v[122:123]                               // 00000000808C: D89A0000 00007A14
	ds_write_b64 v20, v[126:127] offset:8704                   // 000000008094: D89A2200 00007E14
	ds_write_b64 v20, v[130:131] offset:17408                  // 00000000809C: D89A4400 00008214
	ds_write_b64 v20, v[134:135] offset:26112                  // 0000000080A4: D89A6600 00008614
	ds_write_b64 v20, v[138:139] offset:2176                   // 0000000080AC: D89A0880 00008A14
	ds_write_b64 v20, v[142:143] offset:10880                  // 0000000080B4: D89A2A80 00008E14
	ds_write_b64 v20, v[146:147] offset:19584                  // 0000000080BC: D89A4C80 00009214
	ds_write_b64 v20, v[150:151] offset:28288                  // 0000000080C4: D89A6E80 00009614
	ds_write_b64 v20, v[154:155] offset:4352                   // 0000000080CC: D89A1100 00009A14
	ds_write_b64 v20, v[158:159] offset:13056                  // 0000000080D4: D89A3300 00009E14
	ds_write_b64 v20, v[162:163] offset:21760                  // 0000000080DC: D89A5500 0000A214
	ds_write_b64 v20, v[166:167] offset:30464                  // 0000000080E4: D89A7700 0000A614
	ds_write_b64 v20, v[170:171] offset:6528                   // 0000000080EC: D89A1980 0000AA14
	ds_write_b64 v20, v[174:175] offset:15232                  // 0000000080F4: D89A3B80 0000AE14
	ds_write_b64 v20, v[178:179] offset:23936                  // 0000000080FC: D89A5D80 0000B214
	ds_write_b64 v20, v[182:183] offset:32640                  // 000000008104: D89A7F80 0000B614
	s_waitcnt lgkmcnt(0)                                       // 00000000810C: BF8CC07F
	s_barrier                                                  // 000000008110: BF8A0000
	ds_read_b32 v122, v21                                      // 000000008114: D86C0000 7A000015
	ds_read_b32 v123, v21 offset:64                            // 00000000811C: D86C0040 7B000015
	ds_read_b32 v126, v21 offset:2176                          // 000000008124: D86C0880 7E000015
	ds_read_b32 v127, v21 offset:2240                          // 00000000812C: D86C08C0 7F000015
	ds_read_b32 v130, v21 offset:4352                          // 000000008134: D86C1100 82000015
	ds_read_b32 v131, v21 offset:4416                          // 00000000813C: D86C1140 83000015
	ds_read_b32 v134, v21 offset:6528                          // 000000008144: D86C1980 86000015
	ds_read_b32 v135, v21 offset:6592                          // 00000000814C: D86C19C0 87000015
	ds_read_b32 v138, v21 offset:8704                          // 000000008154: D86C2200 8A000015
	ds_read_b32 v139, v21 offset:8768                          // 00000000815C: D86C2240 8B000015
	ds_read_b32 v142, v21 offset:10880                         // 000000008164: D86C2A80 8E000015
	ds_read_b32 v143, v21 offset:10944                         // 00000000816C: D86C2AC0 8F000015
	ds_read_b32 v146, v21 offset:13056                         // 000000008174: D86C3300 92000015
	ds_read_b32 v147, v21 offset:13120                         // 00000000817C: D86C3340 93000015
	ds_read_b32 v150, v21 offset:15232                         // 000000008184: D86C3B80 96000015
	ds_read_b32 v151, v21 offset:15296                         // 00000000818C: D86C3BC0 97000015
	ds_read_b32 v154, v21 offset:17408                         // 000000008194: D86C4400 9A000015
	ds_read_b32 v155, v21 offset:17472                         // 00000000819C: D86C4440 9B000015
	ds_read_b32 v158, v21 offset:19584                         // 0000000081A4: D86C4C80 9E000015
	ds_read_b32 v159, v21 offset:19648                         // 0000000081AC: D86C4CC0 9F000015
	ds_read_b32 v162, v21 offset:21760                         // 0000000081B4: D86C5500 A2000015
	ds_read_b32 v163, v21 offset:21824                         // 0000000081BC: D86C5540 A3000015
	ds_read_b32 v166, v21 offset:23936                         // 0000000081C4: D86C5D80 A6000015
	ds_read_b32 v167, v21 offset:24000                         // 0000000081CC: D86C5DC0 A7000015
	ds_read_b32 v170, v21 offset:26112                         // 0000000081D4: D86C6600 AA000015
	ds_read_b32 v171, v21 offset:26176                         // 0000000081DC: D86C6640 AB000015
	ds_read_b32 v174, v21 offset:28288                         // 0000000081E4: D86C6E80 AE000015
	ds_read_b32 v175, v21 offset:28352                         // 0000000081EC: D86C6EC0 AF000015
	ds_read_b32 v178, v21 offset:30464                         // 0000000081F4: D86C7700 B2000015
	ds_read_b32 v179, v21 offset:30528                         // 0000000081FC: D86C7740 B3000015
	ds_read_b32 v182, v21 offset:32640                         // 000000008204: D86C7F80 B6000015
	ds_read_b32 v183, v21 offset:32704                         // 00000000820C: D86C7FC0 B7000015
	s_waitcnt lgkmcnt(0)                                       // 000000008214: BF8CC07F
	v_mov_b32_e32 v7, 0                                        // 000000008218: 7E0E0280
	s_mov_b64 exec, s[36:37]                                   // 00000000821C: BEFE0124
	v_mov_b32_e32 v6, v44                                      // 000000008220: 7E0C032C
	s_mov_b64 s[60:61], 0                                      // 000000008224: BEBC0180
	v_readlane_b32 s82, v3, 0                                  // 000000008228: D2890052 00010103
	s_and_b32 s82, s82, 0xffffff                               // 000000008230: 8652FF52 00FFFFFF
	s_cmp_lt_u32 s82, s66                                      // 000000008238: BF0A4252
	s_cselect_b32 s20, s36, s60                                // 00000000823C: 85143C24
	v_readlane_b32 s82, v3, 1                                  // 000000008240: D2890052 00010303
	s_and_b32 s82, s82, 0xffffff                               // 000000008248: 8652FF52 00FFFFFF
	s_cmp_lt_u32 s82, s66                                      // 000000008250: BF0A4252
	s_cselect_b32 s21, s36, s60                                // 000000008254: 85153C24
	s_mov_b64 exec, s[20:21]                                   // 000000008258: BEFE0114
	global_atomic_add_f32 v6, v122, s[8:9] offset:8            // 00000000825C: DD348008 00087A06
	global_atomic_add_f32 v6, v126, s[8:9] offset:264          // 000000008264: DD348108 00087E06
	global_atomic_add_f32 v6, v130, s[8:9] offset:520          // 00000000826C: DD348208 00088206
	global_atomic_add_f32 v6, v134, s[8:9] offset:776          // 000000008274: DD348308 00088606
	s_mov_b64 exec, s[36:37]                                   // 00000000827C: BEFE0124
	v_mov_b32_e32 v6, v45                                      // 000000008280: 7E0C032D
	s_mov_b64 s[60:61], 0                                      // 000000008284: BEBC0180
	v_readlane_b32 s82, v3, 2                                  // 000000008288: D2890052 00010503
	s_and_b32 s82, s82, 0xffffff                               // 000000008290: 8652FF52 00FFFFFF
	s_cmp_lt_u32 s82, s66                                      // 000000008298: BF0A4252
	s_cselect_b32 s20, s36, s60                                // 00000000829C: 85143C24
	v_readlane_b32 s82, v3, 3                                  // 0000000082A0: D2890052 00010703
	s_and_b32 s82, s82, 0xffffff                               // 0000000082A8: 8652FF52 00FFFFFF
	s_cmp_lt_u32 s82, s66                                      // 0000000082B0: BF0A4252
	s_cselect_b32 s21, s36, s60                                // 0000000082B4: 85153C24
	s_mov_b64 exec, s[20:21]                                   // 0000000082B8: BEFE0114
	global_atomic_add_f32 v6, v123, s[8:9] offset:8            // 0000000082BC: DD348008 00087B06
	global_atomic_add_f32 v6, v127, s[8:9] offset:264          // 0000000082C4: DD348108 00087F06
	global_atomic_add_f32 v6, v131, s[8:9] offset:520          // 0000000082CC: DD348208 00088306
	global_atomic_add_f32 v6, v135, s[8:9] offset:776          // 0000000082D4: DD348308 00088706
	s_mov_b64 exec, s[36:37]                                   // 0000000082DC: BEFE0124
	v_mov_b32_e32 v6, v46                                      // 0000000082E0: 7E0C032E
	s_mov_b64 s[60:61], 0                                      // 0000000082E4: BEBC0180
	v_readlane_b32 s82, v3, 4                                  // 0000000082E8: D2890052 00010903
	s_and_b32 s82, s82, 0xffffff                               // 0000000082F0: 8652FF52 00FFFFFF
	s_cmp_lt_u32 s82, s66                                      // 0000000082F8: BF0A4252
	s_cselect_b32 s20, s36, s60                                // 0000000082FC: 85143C24
	v_readlane_b32 s82, v3, 5                                  // 000000008300: D2890052 00010B03
	s_and_b32 s82, s82, 0xffffff                               // 000000008308: 8652FF52 00FFFFFF
	s_cmp_lt_u32 s82, s66                                      // 000000008310: BF0A4252
	s_cselect_b32 s21, s36, s60                                // 000000008314: 85153C24
	s_mov_b64 exec, s[20:21]                                   // 000000008318: BEFE0114
	global_atomic_add_f32 v6, v138, s[8:9] offset:8            // 00000000831C: DD348008 00088A06
	global_atomic_add_f32 v6, v142, s[8:9] offset:264          // 000000008324: DD348108 00088E06
	global_atomic_add_f32 v6, v146, s[8:9] offset:520          // 00000000832C: DD348208 00089206
	global_atomic_add_f32 v6, v150, s[8:9] offset:776          // 000000008334: DD348308 00089606
	s_mov_b64 exec, s[36:37]                                   // 00000000833C: BEFE0124
	v_mov_b32_e32 v6, v47                                      // 000000008340: 7E0C032F
	s_mov_b64 s[60:61], 0                                      // 000000008344: BEBC0180
	v_readlane_b32 s82, v3, 6                                  // 000000008348: D2890052 00010D03
	s_and_b32 s82, s82, 0xffffff                               // 000000008350: 8652FF52 00FFFFFF
	s_cmp_lt_u32 s82, s66                                      // 000000008358: BF0A4252
	s_cselect_b32 s20, s36, s60                                // 00000000835C: 85143C24
	v_readlane_b32 s82, v3, 7                                  // 000000008360: D2890052 00010F03
	s_and_b32 s82, s82, 0xffffff                               // 000000008368: 8652FF52 00FFFFFF
	s_cmp_lt_u32 s82, s66                                      // 000000008370: BF0A4252
	s_cselect_b32 s21, s36, s60                                // 000000008374: 85153C24
	s_mov_b64 exec, s[20:21]                                   // 000000008378: BEFE0114
	global_atomic_add_f32 v6, v139, s[8:9] offset:8            // 00000000837C: DD348008 00088B06
	global_atomic_add_f32 v6, v143, s[8:9] offset:264          // 000000008384: DD348108 00088F06
	global_atomic_add_f32 v6, v147, s[8:9] offset:520          // 00000000838C: DD348208 00089306
	global_atomic_add_f32 v6, v151, s[8:9] offset:776          // 000000008394: DD348308 00089706
	s_mov_b64 exec, s[36:37]                                   // 00000000839C: BEFE0124
	v_mov_b32_e32 v6, v48                                      // 0000000083A0: 7E0C0330
	s_mov_b64 s[60:61], 0                                      // 0000000083A4: BEBC0180
	v_readlane_b32 s82, v3, 8                                  // 0000000083A8: D2890052 00011103
	s_and_b32 s82, s82, 0xffffff                               // 0000000083B0: 8652FF52 00FFFFFF
	s_cmp_lt_u32 s82, s66                                      // 0000000083B8: BF0A4252
	s_cselect_b32 s20, s36, s60                                // 0000000083BC: 85143C24
	v_readlane_b32 s82, v3, 9                                  // 0000000083C0: D2890052 00011303
	s_and_b32 s82, s82, 0xffffff                               // 0000000083C8: 8652FF52 00FFFFFF
	s_cmp_lt_u32 s82, s66                                      // 0000000083D0: BF0A4252
	s_cselect_b32 s21, s36, s60                                // 0000000083D4: 85153C24
	s_mov_b64 exec, s[20:21]                                   // 0000000083D8: BEFE0114
	global_atomic_add_f32 v6, v154, s[8:9] offset:8            // 0000000083DC: DD348008 00089A06
	global_atomic_add_f32 v6, v158, s[8:9] offset:264          // 0000000083E4: DD348108 00089E06
	global_atomic_add_f32 v6, v162, s[8:9] offset:520          // 0000000083EC: DD348208 0008A206
	global_atomic_add_f32 v6, v166, s[8:9] offset:776          // 0000000083F4: DD348308 0008A606
	s_mov_b64 exec, s[36:37]                                   // 0000000083FC: BEFE0124
	v_mov_b32_e32 v6, v49                                      // 000000008400: 7E0C0331
	s_mov_b64 s[60:61], 0                                      // 000000008404: BEBC0180
	v_readlane_b32 s82, v3, 10                                 // 000000008408: D2890052 00011503
	s_and_b32 s82, s82, 0xffffff                               // 000000008410: 8652FF52 00FFFFFF
	s_cmp_lt_u32 s82, s66                                      // 000000008418: BF0A4252
	s_cselect_b32 s20, s36, s60                                // 00000000841C: 85143C24
	v_readlane_b32 s82, v3, 11                                 // 000000008420: D2890052 00011703
	s_and_b32 s82, s82, 0xffffff                               // 000000008428: 8652FF52 00FFFFFF
	s_cmp_lt_u32 s82, s66                                      // 000000008430: BF0A4252
	s_cselect_b32 s21, s36, s60                                // 000000008434: 85153C24
	s_mov_b64 exec, s[20:21]                                   // 000000008438: BEFE0114
	global_atomic_add_f32 v6, v155, s[8:9] offset:8            // 00000000843C: DD348008 00089B06
	global_atomic_add_f32 v6, v159, s[8:9] offset:264          // 000000008444: DD348108 00089F06
	global_atomic_add_f32 v6, v163, s[8:9] offset:520          // 00000000844C: DD348208 0008A306
	global_atomic_add_f32 v6, v167, s[8:9] offset:776          // 000000008454: DD348308 0008A706
	s_mov_b64 exec, s[36:37]                                   // 00000000845C: BEFE0124
	v_mov_b32_e32 v6, v50                                      // 000000008460: 7E0C0332
	s_mov_b64 s[60:61], 0                                      // 000000008464: BEBC0180
	v_readlane_b32 s82, v3, 12                                 // 000000008468: D2890052 00011903
	s_and_b32 s82, s82, 0xffffff                               // 000000008470: 8652FF52 00FFFFFF
	s_cmp_lt_u32 s82, s66                                      // 000000008478: BF0A4252
	s_cselect_b32 s20, s36, s60                                // 00000000847C: 85143C24
	v_readlane_b32 s82, v3, 13                                 // 000000008480: D2890052 00011B03
	s_and_b32 s82, s82, 0xffffff                               // 000000008488: 8652FF52 00FFFFFF
	s_cmp_lt_u32 s82, s66                                      // 000000008490: BF0A4252
	s_cselect_b32 s21, s36, s60                                // 000000008494: 85153C24
	s_mov_b64 exec, s[20:21]                                   // 000000008498: BEFE0114
	global_atomic_add_f32 v6, v170, s[8:9] offset:8            // 00000000849C: DD348008 0008AA06
	global_atomic_add_f32 v6, v174, s[8:9] offset:264          // 0000000084A4: DD348108 0008AE06
	global_atomic_add_f32 v6, v178, s[8:9] offset:520          // 0000000084AC: DD348208 0008B206
	global_atomic_add_f32 v6, v182, s[8:9] offset:776          // 0000000084B4: DD348308 0008B606
	s_mov_b64 exec, s[36:37]                                   // 0000000084BC: BEFE0124
	v_mov_b32_e32 v6, v51                                      // 0000000084C0: 7E0C0333
	s_mov_b64 s[60:61], 0                                      // 0000000084C4: BEBC0180
	v_readlane_b32 s82, v3, 14                                 // 0000000084C8: D2890052 00011D03
	s_and_b32 s82, s82, 0xffffff                               // 0000000084D0: 8652FF52 00FFFFFF
	s_cmp_lt_u32 s82, s66                                      // 0000000084D8: BF0A4252
	s_cselect_b32 s20, s36, s60                                // 0000000084DC: 85143C24
	v_readlane_b32 s82, v3, 15                                 // 0000000084E0: D2890052 00011F03
	s_and_b32 s82, s82, 0xffffff                               // 0000000084E8: 8652FF52 00FFFFFF
	s_cmp_lt_u32 s82, s66                                      // 0000000084F0: BF0A4252
	s_cselect_b32 s21, s36, s60                                // 0000000084F4: 85153C24
	s_mov_b64 exec, s[20:21]                                   // 0000000084F8: BEFE0114
	global_atomic_add_f32 v6, v171, s[8:9] offset:8            // 0000000084FC: DD348008 0008AB06
	global_atomic_add_f32 v6, v175, s[8:9] offset:264          // 000000008504: DD348108 0008AF06
	global_atomic_add_f32 v6, v179, s[8:9] offset:520          // 00000000850C: DD348208 0008B306
	global_atomic_add_f32 v6, v183, s[8:9] offset:776          // 000000008514: DD348308 0008B706
	s_mov_b64 exec, s[36:37]                                   // 00000000851C: BEFE0124
	s_branch label_2ADC                                        // 000000008520: BF821410

0000000000008524 <label_16CC>:
	s_waitcnt vmcnt(6) lgkmcnt(0)                              // 000000008524: BF8C0076
	s_barrier                                                  // 000000008528: BF8A0000
	v_mov_b32_e32 v40, v32                                     // 00000000852C: 7E500320
	v_mov_b32_e32 v41, v33                                     // 000000008530: 7E520321
	v_mov_b32_e32 v42, v34                                     // 000000008534: 7E540322
	v_mov_b32_e32 v43, v35                                     // 000000008538: 7E560323
	v_mul_f32_dpp v4, v24, v40 row_newbcast:0 row_mask:0xf bank_mask:0xf// 00000000853C: 0A0850FA FF015018
	v_mfma_f32_16x16x32_fp8_fp8 v[8:11], a[64:65], a[0:1], 0   // 000000008544: D3F30008 1A020140
	buffer_load_dword v27, v23, s[32:35], 0 offen              // 00000000854C: E0501000 80081B17
	buffer_load_dwordx4 a[96:99], v52, s[84:87], 0 offen       // 000000008554: E05C1000 80956034
	v_mfma_f32_16x16x32_fp8_fp8 v[8:11], a[66:67], a[2:3], v[8:11]// 00000000855C: D3F30008 1C220542
	v_mfma_f32_16x16x32_fp8_fp8 v[8:11], a[68:69], a[4:5], v[8:11]// 000000008564: D3F30008 1C220944
	v_mfma_f32_16x16x32_fp8_fp8 v[8:11], a[70:71], a[6:7], v[8:11]// 00000000856C: D3F30008 1C220D46
	v_mul_f32_dpp v6, v24, v41 row_newbcast:0 row_mask:0xf bank_mask:0xf// 000000008574: 0A0C52FA FF015018
	v_mfma_f32_16x16x32_fp8_fp8 v[12:15], a[64:65], a[8:9], 0  // 00000000857C: D3F3000C 1A021140
	buffer_load_dwordx4 a[100:103], v52, s[84:87], 0 offen offset:1024// 000000008584: E05C1400 80956434
	v_mfma_f32_16x16x32_fp8_fp8 v[12:15], a[66:67], a[10:11], v[12:15]// 00000000858C: D3F3000C 1C321542
	v_mfma_f32_16x16x32_fp8_fp8 v[12:15], a[68:69], a[12:13], v[12:15]// 000000008594: D3F3000C 1C321944
	v_mfma_f32_16x16x32_fp8_fp8 v[12:15], a[70:71], a[14:15], v[12:15]// 00000000859C: D3F3000C 1C321D46
	v_fma_f32 v56, v8, v4, v56                                 // 0000000085A4: D1CB0038 04E20908
	v_fma_f32 v57, v9, v4, v57                                 // 0000000085AC: D1CB0039 04E60909
	v_fma_f32 v58, v10, v4, v58                                // 0000000085B4: D1CB003A 04EA090A
	v_fma_f32 v59, v11, v4, v59                                // 0000000085BC: D1CB003B 04EE090B
	v_mul_f32_dpp v4, v24, v42 row_newbcast:0 row_mask:0xf bank_mask:0xf// 0000000085C4: 0A0854FA FF015018
	v_mfma_f32_16x16x32_fp8_fp8 v[8:11], a[64:65], a[16:17], 0 // 0000000085CC: D3F30008 1A022140
	buffer_load_dwordx4 a[104:107], v53, s[84:87], 0 offen     // 0000000085D4: E05C1000 80956835
	v_mfma_f32_16x16x32_fp8_fp8 v[8:11], a[66:67], a[18:19], v[8:11]// 0000000085DC: D3F30008 1C222542
	v_mfma_f32_16x16x32_fp8_fp8 v[8:11], a[68:69], a[20:21], v[8:11]// 0000000085E4: D3F30008 1C222944
	v_mfma_f32_16x16x32_fp8_fp8 v[8:11], a[70:71], a[22:23], v[8:11]// 0000000085EC: D3F30008 1C222D46
	v_fma_f32 v60, v12, v6, v60                                // 0000000085F4: D1CB003C 04F20D0C
	v_fma_f32 v61, v13, v6, v61                                // 0000000085FC: D1CB003D 04F60D0D
	v_fma_f32 v62, v14, v6, v62                                // 000000008604: D1CB003E 04FA0D0E
	v_fma_f32 v63, v15, v6, v63                                // 00000000860C: D1CB003F 04FE0D0F
	v_mul_f32_dpp v6, v24, v43 row_newbcast:0 row_mask:0xf bank_mask:0xf// 000000008614: 0A0C56FA FF015018
	v_mfma_f32_16x16x32_fp8_fp8 v[12:15], a[64:65], a[24:25], 0// 00000000861C: D3F3000C 1A023140
	buffer_load_dwordx4 a[108:111], v53, s[84:87], 0 offen offset:1024// 000000008624: E05C1400 80956C35
	v_mfma_f32_16x16x32_fp8_fp8 v[12:15], a[66:67], a[26:27], v[12:15]// 00000000862C: D3F3000C 1C323542
	v_mfma_f32_16x16x32_fp8_fp8 v[12:15], a[68:69], a[28:29], v[12:15]// 000000008634: D3F3000C 1C323944
	v_mfma_f32_16x16x32_fp8_fp8 v[12:15], a[70:71], a[30:31], v[12:15]// 00000000863C: D3F3000C 1C323D46
	v_fma_f32 v64, v8, v4, v64                                 // 000000008644: D1CB0040 05020908
	v_fma_f32 v65, v9, v4, v65                                 // 00000000864C: D1CB0041 05060909
	v_fma_f32 v66, v10, v4, v66                                // 000000008654: D1CB0042 050A090A
	v_fma_f32 v67, v11, v4, v67                                // 00000000865C: D1CB0043 050E090B
	s_waitcnt vmcnt(9)                                         // 000000008664: BF8C0F79
	v_mul_f32_dpp v4, v24, v40 row_newbcast:0 row_mask:0xf bank_mask:0xf// 000000008668: 0A0850FA FF015018
	v_mfma_f32_16x16x32_fp8_fp8 v[8:11], a[72:73], a[0:1], 0   // 000000008670: D3F30008 1A020148
	buffer_load_dwordx4 a[112:115], v54, s[84:87], 0 offen     // 000000008678: E05C1000 80957036
	v_mfma_f32_16x16x32_fp8_fp8 v[8:11], a[74:75], a[2:3], v[8:11]// 000000008680: D3F30008 1C22054A
	v_mfma_f32_16x16x32_fp8_fp8 v[8:11], a[76:77], a[4:5], v[8:11]// 000000008688: D3F30008 1C22094C
	v_mfma_f32_16x16x32_fp8_fp8 v[8:11], a[78:79], a[6:7], v[8:11]// 000000008690: D3F30008 1C220D4E
	v_fma_f32 v68, v12, v6, v68                                // 000000008698: D1CB0044 05120D0C
	v_fma_f32 v69, v13, v6, v69                                // 0000000086A0: D1CB0045 05160D0D
	v_fma_f32 v70, v14, v6, v70                                // 0000000086A8: D1CB0046 051A0D0E
	v_fma_f32 v71, v15, v6, v71                                // 0000000086B0: D1CB0047 051E0D0F
	v_mul_f32_dpp v6, v24, v41 row_newbcast:0 row_mask:0xf bank_mask:0xf// 0000000086B8: 0A0C52FA FF015018
	v_mfma_f32_16x16x32_fp8_fp8 v[12:15], a[72:73], a[8:9], 0  // 0000000086C0: D3F3000C 1A021148
	buffer_load_dwordx4 a[116:119], v54, s[84:87], 0 offen offset:1024// 0000000086C8: E05C1400 80957436
	v_mfma_f32_16x16x32_fp8_fp8 v[12:15], a[74:75], a[10:11], v[12:15]// 0000000086D0: D3F3000C 1C32154A
	v_mfma_f32_16x16x32_fp8_fp8 v[12:15], a[76:77], a[12:13], v[12:15]// 0000000086D8: D3F3000C 1C32194C
	v_mfma_f32_16x16x32_fp8_fp8 v[12:15], a[78:79], a[14:15], v[12:15]// 0000000086E0: D3F3000C 1C321D4E
	v_fma_f32 v72, v8, v4, v72                                 // 0000000086E8: D1CB0048 05220908
	v_fma_f32 v73, v9, v4, v73                                 // 0000000086F0: D1CB0049 05260909
	v_fma_f32 v74, v10, v4, v74                                // 0000000086F8: D1CB004A 052A090A
	v_fma_f32 v75, v11, v4, v75                                // 000000008700: D1CB004B 052E090B
	v_mul_f32_dpp v4, v24, v42 row_newbcast:0 row_mask:0xf bank_mask:0xf// 000000008708: 0A0854FA FF015018
	v_mfma_f32_16x16x32_fp8_fp8 v[8:11], a[72:73], a[16:17], 0 // 000000008710: D3F30008 1A022148
	buffer_load_dwordx4 a[120:123], v55, s[84:87], 0 offen     // 000000008718: E05C1000 80957837
	v_mfma_f32_16x16x32_fp8_fp8 v[8:11], a[74:75], a[18:19], v[8:11]// 000000008720: D3F30008 1C22254A
	v_mfma_f32_16x16x32_fp8_fp8 v[8:11], a[76:77], a[20:21], v[8:11]// 000000008728: D3F30008 1C22294C
	v_mfma_f32_16x16x32_fp8_fp8 v[8:11], a[78:79], a[22:23], v[8:11]// 000000008730: D3F30008 1C222D4E
	v_fma_f32 v76, v12, v6, v76                                // 000000008738: D1CB004C 05320D0C
	v_fma_f32 v77, v13, v6, v77                                // 000000008740: D1CB004D 05360D0D
	v_fma_f32 v78, v14, v6, v78                                // 000000008748: D1CB004E 053A0D0E
	v_fma_f32 v79, v15, v6, v79                                // 000000008750: D1CB004F 053E0D0F
	v_mul_f32_dpp v6, v24, v43 row_newbcast:0 row_mask:0xf bank_mask:0xf// 000000008758: 0A0C56FA FF015018
	v_mfma_f32_16x16x32_fp8_fp8 v[12:15], a[72:73], a[24:25], 0// 000000008760: D3F3000C 1A023148
	buffer_load_dwordx4 a[124:127], v55, s[84:87], 0 offen offset:1024// 000000008768: E05C1400 80957C37
	buffer_load_dword v44, s[20:23], 0 offen lds               // 000000008770: E0511000 8005002C
	s_add_u32 m0, 0x100, s48                                   // 000000008778: 807C30FF 00000100
	v_mfma_f32_16x16x32_fp8_fp8 v[12:15], a[74:75], a[26:27], v[12:15]// 000000008780: D3F3000C 1C32354A
	v_mfma_f32_16x16x32_fp8_fp8 v[12:15], a[76:77], a[28:29], v[12:15]// 000000008788: D3F3000C 1C32394C
	buffer_load_dword v45, s[20:23], 0 offen lds               // 000000008790: E0511000 8005002D
	s_add_u32 m0, 0x200, s48                                   // 000000008798: 807C30FF 00000200
	v_mfma_f32_16x16x32_fp8_fp8 v[12:15], a[78:79], a[30:31], v[12:15]// 0000000087A0: D3F3000C 1C323D4E
	v_fma_f32 v80, v8, v4, v80                                 // 0000000087A8: D1CB0050 05420908
	v_fma_f32 v81, v9, v4, v81                                 // 0000000087B0: D1CB0051 05460909
	v_fma_f32 v82, v10, v4, v82                                // 0000000087B8: D1CB0052 054A090A
	v_fma_f32 v83, v11, v4, v83                                // 0000000087C0: D1CB0053 054E090B
	s_waitcnt vmcnt(13)                                        // 0000000087C8: BF8C0F7D
	v_mul_f32_dpp v4, v24, v40 row_newbcast:1 row_mask:0xf bank_mask:0xf// 0000000087CC: 0A0850FA FF015118
	v_mfma_f32_16x16x32_fp8_fp8 v[8:11], a[80:81], a[0:1], 0   // 0000000087D4: D3F30008 1A020150
	buffer_load_dword v46, s[20:23], 0 offen lds               // 0000000087DC: E0511000 8005002E
	s_add_u32 m0, 0x300, s48                                   // 0000000087E4: 807C30FF 00000300
	v_mfma_f32_16x16x32_fp8_fp8 v[8:11], a[82:83], a[2:3], v[8:11]// 0000000087EC: D3F30008 1C220552
	v_mfma_f32_16x16x32_fp8_fp8 v[8:11], a[84:85], a[4:5], v[8:11]// 0000000087F4: D3F30008 1C220954
	buffer_load_dword v47, s[20:23], 0 offen lds               // 0000000087FC: E0511000 8005002F
	s_add_u32 m0, 0x400, s48                                   // 000000008804: 807C30FF 00000400
	v_mfma_f32_16x16x32_fp8_fp8 v[8:11], a[86:87], a[6:7], v[8:11]// 00000000880C: D3F30008 1C220D56
	v_fma_f32 v84, v12, v6, v84                                // 000000008814: D1CB0054 05520D0C
	v_fma_f32 v85, v13, v6, v85                                // 00000000881C: D1CB0055 05560D0D
	v_fma_f32 v86, v14, v6, v86                                // 000000008824: D1CB0056 055A0D0E
	v_fma_f32 v87, v15, v6, v87                                // 00000000882C: D1CB0057 055E0D0F
	v_mul_f32_dpp v6, v24, v41 row_newbcast:1 row_mask:0xf bank_mask:0xf// 000000008834: 0A0C52FA FF015118
	v_mfma_f32_16x16x32_fp8_fp8 v[12:15], a[80:81], a[8:9], 0  // 00000000883C: D3F3000C 1A021150
	buffer_load_dword v48, s[20:23], 0 offen lds               // 000000008844: E0511000 80050030
	s_add_u32 m0, 0x500, s48                                   // 00000000884C: 807C30FF 00000500
	v_mfma_f32_16x16x32_fp8_fp8 v[12:15], a[82:83], a[10:11], v[12:15]// 000000008854: D3F3000C 1C321552
	v_mfma_f32_16x16x32_fp8_fp8 v[12:15], a[84:85], a[12:13], v[12:15]// 00000000885C: D3F3000C 1C321954
	buffer_load_dword v49, s[20:23], 0 offen lds               // 000000008864: E0511000 80050031
	s_add_u32 m0, 0x600, s48                                   // 00000000886C: 807C30FF 00000600
	v_mfma_f32_16x16x32_fp8_fp8 v[12:15], a[86:87], a[14:15], v[12:15]// 000000008874: D3F3000C 1C321D56
	v_fma_f32 v88, v8, v4, v88                                 // 00000000887C: D1CB0058 05620908
	v_fma_f32 v89, v9, v4, v89                                 // 000000008884: D1CB0059 05660909
	v_fma_f32 v90, v10, v4, v90                                // 00000000888C: D1CB005A 056A090A
	v_fma_f32 v91, v11, v4, v91                                // 000000008894: D1CB005B 056E090B
	v_mul_f32_dpp v4, v24, v42 row_newbcast:1 row_mask:0xf bank_mask:0xf// 00000000889C: 0A0854FA FF015118
	v_mfma_f32_16x16x32_fp8_fp8 v[8:11], a[80:81], a[16:17], 0 // 0000000088A4: D3F30008 1A022150
	buffer_load_dword v50, s[20:23], 0 offen lds               // 0000000088AC: E0511000 80050032
	s_add_u32 m0, 0x700, s48                                   // 0000000088B4: 807C30FF 00000700
	v_mfma_f32_16x16x32_fp8_fp8 v[8:11], a[82:83], a[18:19], v[8:11]// 0000000088BC: D3F30008 1C222552
	v_mfma_f32_16x16x32_fp8_fp8 v[8:11], a[84:85], a[20:21], v[8:11]// 0000000088C4: D3F30008 1C222954
	buffer_load_dword v51, s[20:23], 0 offen lds               // 0000000088CC: E0511000 80050033
	s_add_u32 m0, 0, s49                                       // 0000000088D4: 807C3180
	v_mfma_f32_16x16x32_fp8_fp8 v[8:11], a[86:87], a[22:23], v[8:11]// 0000000088D8: D3F30008 1C222D56
	v_fma_f32 v92, v12, v6, v92                                // 0000000088E0: D1CB005C 05720D0C
	v_fma_f32 v93, v13, v6, v93                                // 0000000088E8: D1CB005D 05760D0D
	v_fma_f32 v94, v14, v6, v94                                // 0000000088F0: D1CB005E 057A0D0E
	v_fma_f32 v95, v15, v6, v95                                // 0000000088F8: D1CB005F 057E0D0F
	v_mul_f32_dpp v6, v24, v43 row_newbcast:1 row_mask:0xf bank_mask:0xf// 000000008900: 0A0C56FA FF015118
	v_mfma_f32_16x16x32_fp8_fp8 v[12:15], a[80:81], a[24:25], 0// 000000008908: D3F3000C 1A023150
	buffer_load_dword v32, v28, s[28:31], 0 offen              // 000000008910: E0501000 8007201C
	v_mfma_f32_16x16x32_fp8_fp8 v[12:15], a[82:83], a[26:27], v[12:15]// 000000008918: D3F3000C 1C323552
	v_mfma_f32_16x16x32_fp8_fp8 v[12:15], a[84:85], a[28:29], v[12:15]// 000000008920: D3F3000C 1C323954
	buffer_load_dword v33, v29, s[28:31], 0 offen              // 000000008928: E0501000 8007211D
	v_mfma_f32_16x16x32_fp8_fp8 v[12:15], a[86:87], a[30:31], v[12:15]// 000000008930: D3F3000C 1C323D56
	v_fma_f32 v96, v8, v4, v96                                 // 000000008938: D1CB0060 05820908
	v_fma_f32 v97, v9, v4, v97                                 // 000000008940: D1CB0061 05860909
	v_fma_f32 v98, v10, v4, v98                                // 000000008948: D1CB0062 058A090A
	v_fma_f32 v99, v11, v4, v99                                // 000000008950: D1CB0063 058E090B
	s_waitcnt vmcnt(19)                                        // 000000008958: BF8C4F73
	v_mul_f32_dpp v4, v24, v40 row_newbcast:1 row_mask:0xf bank_mask:0xf// 00000000895C: 0A0850FA FF015118
	v_mfma_f32_16x16x32_fp8_fp8 v[8:11], a[88:89], a[0:1], 0   // 000000008964: D3F30008 1A020158
	buffer_load_dword v34, v30, s[28:31], 0 offen              // 00000000896C: E0501000 8007221E
	v_mfma_f32_16x16x32_fp8_fp8 v[8:11], a[90:91], a[2:3], v[8:11]// 000000008974: D3F30008 1C22055A
	v_mfma_f32_16x16x32_fp8_fp8 v[8:11], a[92:93], a[4:5], v[8:11]// 00000000897C: D3F30008 1C22095C
	buffer_load_dword v35, v31, s[28:31], 0 offen              // 000000008984: E0501000 8007231F
	v_mfma_f32_16x16x32_fp8_fp8 v[8:11], a[94:95], a[6:7], v[8:11]// 00000000898C: D3F30008 1C220D5E
	v_fma_f32 v100, v12, v6, v100                              // 000000008994: D1CB0064 05920D0C
	v_fma_f32 v101, v13, v6, v101                              // 00000000899C: D1CB0065 05960D0D
	v_fma_f32 v102, v14, v6, v102                              // 0000000089A4: D1CB0066 059A0D0E
	v_fma_f32 v103, v15, v6, v103                              // 0000000089AC: D1CB0067 059E0D0F
	v_mul_f32_dpp v6, v24, v41 row_newbcast:1 row_mask:0xf bank_mask:0xf// 0000000089B4: 0A0C52FA FF015118
	v_mfma_f32_16x16x32_fp8_fp8 v[12:15], a[88:89], a[8:9], 0  // 0000000089BC: D3F3000C 1A021158
	v_mfma_f32_16x16x32_fp8_fp8 v[12:15], a[90:91], a[10:11], v[12:15]// 0000000089C4: D3F3000C 1C32155A
	v_mfma_f32_16x16x32_fp8_fp8 v[12:15], a[92:93], a[12:13], v[12:15]// 0000000089CC: D3F3000C 1C32195C
	v_mfma_f32_16x16x32_fp8_fp8 v[12:15], a[94:95], a[14:15], v[12:15]// 0000000089D4: D3F3000C 1C321D5E
	v_fma_f32 v104, v8, v4, v104                               // 0000000089DC: D1CB0068 05A20908
	v_fma_f32 v105, v9, v4, v105                               // 0000000089E4: D1CB0069 05A60909
	v_fma_f32 v106, v10, v4, v106                              // 0000000089EC: D1CB006A 05AA090A
	v_fma_f32 v107, v11, v4, v107                              // 0000000089F4: D1CB006B 05AE090B
	v_mul_f32_dpp v4, v24, v42 row_newbcast:1 row_mask:0xf bank_mask:0xf// 0000000089FC: 0A0854FA FF015118
	v_mfma_f32_16x16x32_fp8_fp8 v[8:11], a[88:89], a[16:17], 0 // 000000008A04: D3F30008 1A022158
	v_mfma_f32_16x16x32_fp8_fp8 v[8:11], a[90:91], a[18:19], v[8:11]// 000000008A0C: D3F30008 1C22255A
	v_mfma_f32_16x16x32_fp8_fp8 v[8:11], a[92:93], a[20:21], v[8:11]// 000000008A14: D3F30008 1C22295C
	v_mfma_f32_16x16x32_fp8_fp8 v[8:11], a[94:95], a[22:23], v[8:11]// 000000008A1C: D3F30008 1C222D5E
	v_fma_f32 v108, v12, v6, v108                              // 000000008A24: D1CB006C 05B20D0C
	v_fma_f32 v109, v13, v6, v109                              // 000000008A2C: D1CB006D 05B60D0D
	v_fma_f32 v110, v14, v6, v110                              // 000000008A34: D1CB006E 05BA0D0E
	v_fma_f32 v111, v15, v6, v111                              // 000000008A3C: D1CB006F 05BE0D0F
	v_mul_f32_dpp v6, v24, v43 row_newbcast:1 row_mask:0xf bank_mask:0xf// 000000008A44: 0A0C56FA FF015118
	v_mfma_f32_16x16x32_fp8_fp8 v[12:15], a[88:89], a[24:25], 0// 000000008A4C: D3F3000C 1A023158
	v_mfma_f32_16x16x32_fp8_fp8 v[12:15], a[90:91], a[26:27], v[12:15]// 000000008A54: D3F3000C 1C32355A
	s_add_u32 s60, 0x80, s80                                   // 000000008A5C: 803C50FF 00000080
	s_cmp_lt_u32 s60, s81                                      // 000000008A64: BF0A513C
	s_cselect_b32 s83, s83, 0                                  // 000000008A68: 85538053
	s_cselect_b32 s4, s4, 0                                    // 000000008A6C: 85048004
	v_mfma_f32_16x16x32_fp8_fp8 v[12:15], a[92:93], a[28:29], v[12:15]// 000000008A70: D3F3000C 1C32395C
	s_add_u32 s32, s4, s32                                     // 000000008A78: 80202004
	s_addc_u32 s33, 0, s33                                     // 000000008A7C: 82212180
	v_mfma_f32_16x16x32_fp8_fp8 v[12:15], a[94:95], a[30:31], v[12:15]// 000000008A80: D3F3000C 1C323D5E
	v_fma_f32 v112, v8, v4, v112                               // 000000008A88: D1CB0070 05C20908
	v_fma_f32 v113, v9, v4, v113                               // 000000008A90: D1CB0071 05C60909
	v_fma_f32 v114, v10, v4, v114                              // 000000008A98: D1CB0072 05CA090A
	v_fma_f32 v115, v11, v4, v115                              // 000000008AA0: D1CB0073 05CE090B
	v_fma_f32 v116, v12, v6, v116                              // 000000008AA8: D1CB0074 05D20D0C
	v_fma_f32 v117, v13, v6, v117                              // 000000008AB0: D1CB0075 05D60D0D
	v_fma_f32 v118, v14, v6, v118                              // 000000008AB8: D1CB0076 05DA0D0E
	v_fma_f32 v119, v15, v6, v119                              // 000000008AC0: D1CB0077 05DE0D0F
	s_waitcnt vmcnt(12)                                        // 000000008AC8: BF8C0F7C
	v_mul_f32_dpp v4, v27, v40 row_newbcast:0 row_mask:0xf bank_mask:0xf// 000000008ACC: 0A0850FA FF01501B
	v_mfma_f32_16x16x32_fp8_fp8 v[8:11], a[96:97], a[0:1], 0   // 000000008AD4: D3F30008 1A020160
	buffer_load_dword v24, v22, s[32:35], 0 offen              // 000000008ADC: E0501000 80081816
	buffer_load_dwordx4 a[64:67], v52, s[24:27], 0 offen       // 000000008AE4: E05C1000 80864034
	v_mfma_f32_16x16x32_fp8_fp8 v[8:11], a[98:99], a[2:3], v[8:11]// 000000008AEC: D3F30008 1C220562
	v_mfma_f32_16x16x32_fp8_fp8 v[8:11], a[100:101], a[4:5], v[8:11]// 000000008AF4: D3F30008 1C220964
	ds_read_b128 a[32:35], v2 offset:8320                      // 000000008AFC: DBFE2080 20000002
	ds_read_b128 a[36:39], v2 offset:8384                      // 000000008B04: DBFE20C0 24000002
	v_mfma_f32_16x16x32_fp8_fp8 v[8:11], a[102:103], a[6:7], v[8:11]// 000000008B0C: D3F30008 1C220D66
	v_mfma_f32_16x16x32_fp8_fp8 v[12:15], a[104:105], a[0:1], 0// 000000008B14: D3F3000C 1A020168
	buffer_load_dwordx4 a[68:71], v52, s[24:27], 0 offen offset:1024// 000000008B1C: E05C1400 80864434
	v_mfma_f32_16x16x32_fp8_fp8 v[12:15], a[106:107], a[2:3], v[12:15]// 000000008B24: D3F3000C 1C32056A
	v_mfma_f32_16x16x32_fp8_fp8 v[12:15], a[108:109], a[4:5], v[12:15]// 000000008B2C: D3F3000C 1C32096C
	ds_read_b128 a[40:43], v2 offset:8832                      // 000000008B34: DBFE2280 28000002
	ds_read_b128 a[44:47], v2 offset:8896                      // 000000008B3C: DBFE22C0 2C000002
	v_mfma_f32_16x16x32_fp8_fp8 v[12:15], a[110:111], a[6:7], v[12:15]// 000000008B44: D3F3000C 1C320D6E
	v_fma_f32 v120, v8, v4, v120                               // 000000008B4C: D1CB0078 05E20908
	v_fma_f32 v121, v9, v4, v121                               // 000000008B54: D1CB0079 05E60909
	v_fma_f32 v122, v10, v4, v122                              // 000000008B5C: D1CB007A 05EA090A
	v_fma_f32 v123, v11, v4, v123                              // 000000008B64: D1CB007B 05EE090B
	v_mul_f32_dpp v6, v27, v40 row_newbcast:1 row_mask:0xf bank_mask:0xf// 000000008B6C: 0A0C50FA FF01511B
	v_mfma_f32_16x16x32_fp8_fp8 v[8:11], a[112:113], a[0:1], 0 // 000000008B74: D3F30008 1A020170
	buffer_load_dwordx4 a[72:75], v53, s[24:27], 0 offen       // 000000008B7C: E05C1000 80864835
	v_mfma_f32_16x16x32_fp8_fp8 v[8:11], a[114:115], a[2:3], v[8:11]// 000000008B84: D3F30008 1C220572
	v_mfma_f32_16x16x32_fp8_fp8 v[8:11], a[116:117], a[4:5], v[8:11]// 000000008B8C: D3F30008 1C220974
	ds_read_b128 a[48:51], v2 offset:9344                      // 000000008B94: DBFE2480 30000002
	ds_read_b128 a[52:55], v2 offset:9408                      // 000000008B9C: DBFE24C0 34000002
	v_mfma_f32_16x16x32_fp8_fp8 v[8:11], a[118:119], a[6:7], v[8:11]// 000000008BA4: D3F30008 1C220D76
	v_fma_f32 v136, v12, v4, v136                              // 000000008BAC: D1CB0088 0622090C
	v_fma_f32 v137, v13, v4, v137                              // 000000008BB4: D1CB0089 0626090D
	v_fma_f32 v138, v14, v4, v138                              // 000000008BBC: D1CB008A 062A090E
	v_fma_f32 v139, v15, v4, v139                              // 000000008BC4: D1CB008B 062E090F
	v_mfma_f32_16x16x32_fp8_fp8 v[12:15], a[120:121], a[0:1], 0// 000000008BCC: D3F3000C 1A020178
	buffer_load_dwordx4 a[76:79], v53, s[24:27], 0 offen offset:1024// 000000008BD4: E05C1400 80864C35
	v_mfma_f32_16x16x32_fp8_fp8 v[12:15], a[122:123], a[2:3], v[12:15]// 000000008BDC: D3F3000C 1C32057A
	v_mfma_f32_16x16x32_fp8_fp8 v[12:15], a[124:125], a[4:5], v[12:15]// 000000008BE4: D3F3000C 1C32097C
	ds_read_b128 a[56:59], v2 offset:9856                      // 000000008BEC: DBFE2680 38000002
	ds_read_b128 a[60:63], v2 offset:9920                      // 000000008BF4: DBFE26C0 3C000002
	v_mfma_f32_16x16x32_fp8_fp8 v[12:15], a[126:127], a[6:7], v[12:15]// 000000008BFC: D3F3000C 1C320D7E
	v_fma_f32 v152, v8, v6, v152                               // 000000008C04: D1CB0098 06620D08
	v_fma_f32 v153, v9, v6, v153                               // 000000008C0C: D1CB0099 06660D09
	v_fma_f32 v154, v10, v6, v154                              // 000000008C14: D1CB009A 066A0D0A
	v_fma_f32 v155, v11, v6, v155                              // 000000008C1C: D1CB009B 066E0D0B
	v_mul_f32_dpp v4, v27, v41 row_newbcast:0 row_mask:0xf bank_mask:0xf// 000000008C24: 0A0852FA FF01501B
	v_mfma_f32_16x16x32_fp8_fp8 v[8:11], a[96:97], a[8:9], 0   // 000000008C2C: D3F30008 1A021160
	buffer_load_dwordx4 a[80:83], v54, s[24:27], 0 offen       // 000000008C34: E05C1000 80865036
	v_mfma_f32_16x16x32_fp8_fp8 v[8:11], a[98:99], a[10:11], v[8:11]// 000000008C3C: D3F30008 1C221562
	v_mfma_f32_16x16x32_fp8_fp8 v[8:11], a[100:101], a[12:13], v[8:11]// 000000008C44: D3F30008 1C221964
	v_mfma_f32_16x16x32_fp8_fp8 v[8:11], a[102:103], a[14:15], v[8:11]// 000000008C4C: D3F30008 1C221D66
	v_fma_f32 v168, v12, v6, v168                              // 000000008C54: D1CB00A8 06A20D0C
	v_fma_f32 v169, v13, v6, v169                              // 000000008C5C: D1CB00A9 06A60D0D
	v_fma_f32 v170, v14, v6, v170                              // 000000008C64: D1CB00AA 06AA0D0E
	v_fma_f32 v171, v15, v6, v171                              // 000000008C6C: D1CB00AB 06AE0D0F
	v_mfma_f32_16x16x32_fp8_fp8 v[12:15], a[104:105], a[8:9], 0// 000000008C74: D3F3000C 1A021168
	buffer_load_dwordx4 a[84:87], v54, s[24:27], 0 offen offset:1024// 000000008C7C: E05C1400 80865436
	v_mfma_f32_16x16x32_fp8_fp8 v[12:15], a[106:107], a[10:11], v[12:15]// 000000008C84: D3F3000C 1C32156A
	v_mfma_f32_16x16x32_fp8_fp8 v[12:15], a[108:109], a[12:13], v[12:15]// 000000008C8C: D3F3000C 1C32196C
	v_mfma_f32_16x16x32_fp8_fp8 v[12:15], a[110:111], a[14:15], v[12:15]// 000000008C94: D3F3000C 1C321D6E
	v_fma_f32 v124, v8, v4, v124                               // 000000008C9C: D1CB007C 05F20908
	v_fma_f32 v125, v9, v4, v125                               // 000000008CA4: D1CB007D 05F60909
	v_fma_f32 v126, v10, v4, v126                              // 000000008CAC: D1CB007E 05FA090A
	v_fma_f32 v127, v11, v4, v127                              // 000000008CB4: D1CB007F 05FE090B
	v_mul_f32_dpp v6, v27, v41 row_newbcast:1 row_mask:0xf bank_mask:0xf// 000000008CBC: 0A0C52FA FF01511B
	v_mfma_f32_16x16x32_fp8_fp8 v[8:11], a[112:113], a[8:9], 0 // 000000008CC4: D3F30008 1A021170
	buffer_load_dwordx4 a[88:91], v55, s[24:27], 0 offen       // 000000008CCC: E05C1000 80865837
	v_mfma_f32_16x16x32_fp8_fp8 v[8:11], a[114:115], a[10:11], v[8:11]// 000000008CD4: D3F30008 1C221572
	v_mfma_f32_16x16x32_fp8_fp8 v[8:11], a[116:117], a[12:13], v[8:11]// 000000008CDC: D3F30008 1C221974
	v_mfma_f32_16x16x32_fp8_fp8 v[8:11], a[118:119], a[14:15], v[8:11]// 000000008CE4: D3F30008 1C221D76
	v_fma_f32 v140, v12, v4, v140                              // 000000008CEC: D1CB008C 0632090C
	v_fma_f32 v141, v13, v4, v141                              // 000000008CF4: D1CB008D 0636090D
	v_fma_f32 v142, v14, v4, v142                              // 000000008CFC: D1CB008E 063A090E
	v_fma_f32 v143, v15, v4, v143                              // 000000008D04: D1CB008F 063E090F
	v_mfma_f32_16x16x32_fp8_fp8 v[12:15], a[120:121], a[8:9], 0// 000000008D0C: D3F3000C 1A021178
	buffer_load_dwordx4 a[92:95], v55, s[24:27], 0 offen offset:1024// 000000008D14: E05C1400 80865C37
	v_mfma_f32_16x16x32_fp8_fp8 v[12:15], a[122:123], a[10:11], v[12:15]// 000000008D1C: D3F3000C 1C32157A
	v_mfma_f32_16x16x32_fp8_fp8 v[12:15], a[124:125], a[12:13], v[12:15]// 000000008D24: D3F3000C 1C32197C
	v_mfma_f32_16x16x32_fp8_fp8 v[12:15], a[126:127], a[14:15], v[12:15]// 000000008D2C: D3F3000C 1C321D7E
	v_fma_f32 v156, v8, v6, v156                               // 000000008D34: D1CB009C 06720D08
	v_fma_f32 v157, v9, v6, v157                               // 000000008D3C: D1CB009D 06760D09
	v_fma_f32 v158, v10, v6, v158                              // 000000008D44: D1CB009E 067A0D0A
	v_fma_f32 v159, v11, v6, v159                              // 000000008D4C: D1CB009F 067E0D0B
	v_mul_f32_dpp v4, v27, v42 row_newbcast:0 row_mask:0xf bank_mask:0xf// 000000008D54: 0A0854FA FF01501B
	v_mfma_f32_16x16x32_fp8_fp8 v[8:11], a[96:97], a[16:17], 0 // 000000008D5C: D3F30008 1A022160
	v_mfma_f32_16x16x32_fp8_fp8 v[8:11], a[98:99], a[18:19], v[8:11]// 000000008D64: D3F30008 1C222562
	v_mfma_f32_16x16x32_fp8_fp8 v[8:11], a[100:101], a[20:21], v[8:11]// 000000008D6C: D3F30008 1C222964
	v_mfma_f32_16x16x32_fp8_fp8 v[8:11], a[102:103], a[22:23], v[8:11]// 000000008D74: D3F30008 1C222D66
	v_fma_f32 v172, v12, v6, v172                              // 000000008D7C: D1CB00AC 06B20D0C
	v_fma_f32 v173, v13, v6, v173                              // 000000008D84: D1CB00AD 06B60D0D
	v_fma_f32 v174, v14, v6, v174                              // 000000008D8C: D1CB00AE 06BA0D0E
	v_fma_f32 v175, v15, v6, v175                              // 000000008D94: D1CB00AF 06BE0D0F
	v_mfma_f32_16x16x32_fp8_fp8 v[12:15], a[104:105], a[16:17], 0// 000000008D9C: D3F3000C 1A022168
	v_mfma_f32_16x16x32_fp8_fp8 v[12:15], a[106:107], a[18:19], v[12:15]// 000000008DA4: D3F3000C 1C32256A
	v_mfma_f32_16x16x32_fp8_fp8 v[12:15], a[108:109], a[20:21], v[12:15]// 000000008DAC: D3F3000C 1C32296C
	v_mfma_f32_16x16x32_fp8_fp8 v[12:15], a[110:111], a[22:23], v[12:15]// 000000008DB4: D3F3000C 1C322D6E
	v_fma_f32 v128, v8, v4, v128                               // 000000008DBC: D1CB0080 06020908
	v_fma_f32 v129, v9, v4, v129                               // 000000008DC4: D1CB0081 06060909
	v_fma_f32 v130, v10, v4, v130                              // 000000008DCC: D1CB0082 060A090A
	v_fma_f32 v131, v11, v4, v131                              // 000000008DD4: D1CB0083 060E090B
	v_mul_f32_dpp v6, v27, v42 row_newbcast:1 row_mask:0xf bank_mask:0xf// 000000008DDC: 0A0C54FA FF01511B
	v_mfma_f32_16x16x32_fp8_fp8 v[8:11], a[112:113], a[16:17], 0// 000000008DE4: D3F30008 1A022170
	v_mfma_f32_16x16x32_fp8_fp8 v[8:11], a[114:115], a[18:19], v[8:11]// 000000008DEC: D3F30008 1C222572
	v_mfma_f32_16x16x32_fp8_fp8 v[8:11], a[116:117], a[20:21], v[8:11]// 000000008DF4: D3F30008 1C222974
	v_mfma_f32_16x16x32_fp8_fp8 v[8:11], a[118:119], a[22:23], v[8:11]// 000000008DFC: D3F30008 1C222D76
	v_fma_f32 v144, v12, v4, v144                              // 000000008E04: D1CB0090 0642090C
	v_fma_f32 v145, v13, v4, v145                              // 000000008E0C: D1CB0091 0646090D
	v_fma_f32 v146, v14, v4, v146                              // 000000008E14: D1CB0092 064A090E
	v_fma_f32 v147, v15, v4, v147                              // 000000008E1C: D1CB0093 064E090F
	v_mfma_f32_16x16x32_fp8_fp8 v[12:15], a[120:121], a[16:17], 0// 000000008E24: D3F3000C 1A022178
	v_mfma_f32_16x16x32_fp8_fp8 v[12:15], a[122:123], a[18:19], v[12:15]// 000000008E2C: D3F3000C 1C32257A
	v_mfma_f32_16x16x32_fp8_fp8 v[12:15], a[124:125], a[20:21], v[12:15]// 000000008E34: D3F3000C 1C32297C
	v_mfma_f32_16x16x32_fp8_fp8 v[12:15], a[126:127], a[22:23], v[12:15]// 000000008E3C: D3F3000C 1C322D7E
	v_fma_f32 v160, v8, v6, v160                               // 000000008E44: D1CB00A0 06820D08
	v_fma_f32 v161, v9, v6, v161                               // 000000008E4C: D1CB00A1 06860D09
	v_fma_f32 v162, v10, v6, v162                              // 000000008E54: D1CB00A2 068A0D0A
	v_fma_f32 v163, v11, v6, v163                              // 000000008E5C: D1CB00A3 068E0D0B
	v_mul_f32_dpp v4, v27, v43 row_newbcast:0 row_mask:0xf bank_mask:0xf// 000000008E64: 0A0856FA FF01501B
	v_mfma_f32_16x16x32_fp8_fp8 v[8:11], a[96:97], a[24:25], 0 // 000000008E6C: D3F30008 1A023160
	v_mfma_f32_16x16x32_fp8_fp8 v[8:11], a[98:99], a[26:27], v[8:11]// 000000008E74: D3F30008 1C223562
	v_mfma_f32_16x16x32_fp8_fp8 v[8:11], a[100:101], a[28:29], v[8:11]// 000000008E7C: D3F30008 1C223964
	v_mfma_f32_16x16x32_fp8_fp8 v[8:11], a[102:103], a[30:31], v[8:11]// 000000008E84: D3F30008 1C223D66
	v_fma_f32 v176, v12, v6, v176                              // 000000008E8C: D1CB00B0 06C20D0C
	v_fma_f32 v177, v13, v6, v177                              // 000000008E94: D1CB00B1 06C60D0D
	v_fma_f32 v178, v14, v6, v178                              // 000000008E9C: D1CB00B2 06CA0D0E
	v_fma_f32 v179, v15, v6, v179                              // 000000008EA4: D1CB00B3 06CE0D0F
	v_mfma_f32_16x16x32_fp8_fp8 v[12:15], a[104:105], a[24:25], 0// 000000008EAC: D3F3000C 1A023168
	v_mfma_f32_16x16x32_fp8_fp8 v[12:15], a[106:107], a[26:27], v[12:15]// 000000008EB4: D3F3000C 1C32356A
	v_mfma_f32_16x16x32_fp8_fp8 v[12:15], a[108:109], a[28:29], v[12:15]// 000000008EBC: D3F3000C 1C32396C
	v_mfma_f32_16x16x32_fp8_fp8 v[12:15], a[110:111], a[30:31], v[12:15]// 000000008EC4: D3F3000C 1C323D6E
	v_fma_f32 v132, v8, v4, v132                               // 000000008ECC: D1CB0084 06120908
	v_fma_f32 v133, v9, v4, v133                               // 000000008ED4: D1CB0085 06160909
	v_fma_f32 v134, v10, v4, v134                              // 000000008EDC: D1CB0086 061A090A
	v_fma_f32 v135, v11, v4, v135                              // 000000008EE4: D1CB0087 061E090B
	v_mul_f32_dpp v6, v27, v43 row_newbcast:1 row_mask:0xf bank_mask:0xf// 000000008EEC: 0A0C56FA FF01511B
	v_mfma_f32_16x16x32_fp8_fp8 v[8:11], a[112:113], a[24:25], 0// 000000008EF4: D3F30008 1A023170
	v_mfma_f32_16x16x32_fp8_fp8 v[8:11], a[114:115], a[26:27], v[8:11]// 000000008EFC: D3F30008 1C223572
	v_mfma_f32_16x16x32_fp8_fp8 v[8:11], a[116:117], a[28:29], v[8:11]// 000000008F04: D3F30008 1C223974
	s_add_u32 s60, 0x180, s80                                  // 000000008F0C: 803C50FF 00000180
	s_cmp_lt_u32 s60, s81                                      // 000000008F14: BF0A513C
	s_cselect_b32 s57, s57, 0                                  // 000000008F18: 85398039
	s_cselect_b32 s3, s3, 0                                    // 000000008F1C: 85038003
	v_mfma_f32_16x16x32_fp8_fp8 v[8:11], a[118:119], a[30:31], v[8:11]// 000000008F20: D3F30008 1C223D76
	s_add_u32 s60, 0x100, s80                                  // 000000008F28: 803C50FF 00000100
	s_cmp_lt_u32 s60, s81                                      // 000000008F30: BF0A513C
	s_cselect_b32 s58, s58, 0                                  // 000000008F34: 853A803A
	v_fma_f32 v148, v12, v4, v148                              // 000000008F38: D1CB0094 0652090C
	v_fma_f32 v149, v13, v4, v149                              // 000000008F40: D1CB0095 0656090D
	v_fma_f32 v150, v14, v4, v150                              // 000000008F48: D1CB0096 065A090E
	v_fma_f32 v151, v15, v4, v151                              // 000000008F50: D1CB0097 065E090F
	v_mfma_f32_16x16x32_fp8_fp8 v[12:15], a[120:121], a[24:25], 0// 000000008F58: D3F3000C 1A023178
	s_add_u32 s24, s58, s24                                    // 000000008F60: 8018183A
	s_addc_u32 s25, 0, s25                                     // 000000008F64: 82191980
	v_mfma_f32_16x16x32_fp8_fp8 v[12:15], a[122:123], a[26:27], v[12:15]// 000000008F68: D3F3000C 1C32357A
	s_add_u32 s20, s57, s20                                    // 000000008F70: 80141439
	s_addc_u32 s21, 0, s21                                     // 000000008F74: 82151580
	s_add_u32 s28, s3, s28                                     // 000000008F78: 801C1C03
	s_addc_u32 s29, 0, s29                                     // 000000008F7C: 821D1D80
	v_mfma_f32_16x16x32_fp8_fp8 v[12:15], a[124:125], a[28:29], v[12:15]// 000000008F80: D3F3000C 1C32397C
	s_add_u32 s84, s83, s84                                    // 000000008F88: 80545453
	s_addc_u32 s85, 0, s85                                     // 000000008F8C: 82555580
	v_mfma_f32_16x16x32_fp8_fp8 v[12:15], a[126:127], a[30:31], v[12:15]// 000000008F90: D3F3000C 1C323D7E
	v_fma_f32 v164, v8, v6, v164                               // 000000008F98: D1CB00A4 06920D08
	v_fma_f32 v165, v9, v6, v165                               // 000000008FA0: D1CB00A5 06960D09
	v_fma_f32 v166, v10, v6, v166                              // 000000008FA8: D1CB00A6 069A0D0A
	v_fma_f32 v167, v11, v6, v167                              // 000000008FB0: D1CB00A7 069E0D0B
	v_fma_f32 v180, v12, v6, v180                              // 000000008FB8: D1CB00B4 06D20D0C
	v_fma_f32 v181, v13, v6, v181                              // 000000008FC0: D1CB00B5 06D60D0D
	v_fma_f32 v182, v14, v6, v182                              // 000000008FC8: D1CB00B6 06DA0D0E
	v_fma_f32 v183, v15, v6, v183                              // 000000008FD0: D1CB00B7 06DE0D0F
	s_addk_i32 s80, 0x80                                       // 000000008FD8: B7500080
	s_cmp_lt_i32 s80, s81                                      // 000000008FDC: BF045150
	s_cbranch_scc0 label_1C2D                                  // 000000008FE0: BF8402B1
	s_waitcnt vmcnt(6) lgkmcnt(0)                              // 000000008FE4: BF8C0076
	s_barrier                                                  // 000000008FE8: BF8A0000
	v_mov_b32_e32 v40, v36                                     // 000000008FEC: 7E500324
	v_mov_b32_e32 v41, v37                                     // 000000008FF0: 7E520325
	v_mov_b32_e32 v42, v38                                     // 000000008FF4: 7E540326
	v_mov_b32_e32 v43, v39                                     // 000000008FF8: 7E560327
	v_mul_f32_dpp v4, v24, v40 row_newbcast:0 row_mask:0xf bank_mask:0xf// 000000008FFC: 0A0850FA FF015018
	v_mfma_f32_16x16x32_fp8_fp8 v[8:11], a[64:65], a[32:33], 0 // 000000009004: D3F30008 1A024140
	buffer_load_dword v27, v23, s[32:35], 0 offen              // 00000000900C: E0501000 80081B17
	buffer_load_dwordx4 a[96:99], v52, s[84:87], 0 offen       // 000000009014: E05C1000 80956034
	v_mfma_f32_16x16x32_fp8_fp8 v[8:11], a[66:67], a[34:35], v[8:11]// 00000000901C: D3F30008 1C224542
	v_mfma_f32_16x16x32_fp8_fp8 v[8:11], a[68:69], a[36:37], v[8:11]// 000000009024: D3F30008 1C224944
	v_mfma_f32_16x16x32_fp8_fp8 v[8:11], a[70:71], a[38:39], v[8:11]// 00000000902C: D3F30008 1C224D46
	v_mul_f32_dpp v6, v24, v41 row_newbcast:0 row_mask:0xf bank_mask:0xf// 000000009034: 0A0C52FA FF015018
	v_mfma_f32_16x16x32_fp8_fp8 v[12:15], a[64:65], a[40:41], 0// 00000000903C: D3F3000C 1A025140
	buffer_load_dwordx4 a[100:103], v52, s[84:87], 0 offen offset:1024// 000000009044: E05C1400 80956434
	v_mfma_f32_16x16x32_fp8_fp8 v[12:15], a[66:67], a[42:43], v[12:15]// 00000000904C: D3F3000C 1C325542
	v_mfma_f32_16x16x32_fp8_fp8 v[12:15], a[68:69], a[44:45], v[12:15]// 000000009054: D3F3000C 1C325944
	v_mfma_f32_16x16x32_fp8_fp8 v[12:15], a[70:71], a[46:47], v[12:15]// 00000000905C: D3F3000C 1C325D46
	v_fma_f32 v56, v8, v4, v56                                 // 000000009064: D1CB0038 04E20908
	v_fma_f32 v57, v9, v4, v57                                 // 00000000906C: D1CB0039 04E60909
	v_fma_f32 v58, v10, v4, v58                                // 000000009074: D1CB003A 04EA090A
	v_fma_f32 v59, v11, v4, v59                                // 00000000907C: D1CB003B 04EE090B
	v_mul_f32_dpp v4, v24, v42 row_newbcast:0 row_mask:0xf bank_mask:0xf// 000000009084: 0A0854FA FF015018
	v_mfma_f32_16x16x32_fp8_fp8 v[8:11], a[64:65], a[48:49], 0 // 00000000908C: D3F30008 1A026140
	buffer_load_dwordx4 a[104:107], v53, s[84:87], 0 offen     // 000000009094: E05C1000 80956835
	v_mfma_f32_16x16x32_fp8_fp8 v[8:11], a[66:67], a[50:51], v[8:11]// 00000000909C: D3F30008 1C226542
	v_mfma_f32_16x16x32_fp8_fp8 v[8:11], a[68:69], a[52:53], v[8:11]// 0000000090A4: D3F30008 1C226944
	v_mfma_f32_16x16x32_fp8_fp8 v[8:11], a[70:71], a[54:55], v[8:11]// 0000000090AC: D3F30008 1C226D46
	v_fma_f32 v60, v12, v6, v60                                // 0000000090B4: D1CB003C 04F20D0C
	v_fma_f32 v61, v13, v6, v61                                // 0000000090BC: D1CB003D 04F60D0D
	v_fma_f32 v62, v14, v6, v62                                // 0000000090C4: D1CB003E 04FA0D0E
	v_fma_f32 v63, v15, v6, v63                                // 0000000090CC: D1CB003F 04FE0D0F
	v_mul_f32_dpp v6, v24, v43 row_newbcast:0 row_mask:0xf bank_mask:0xf// 0000000090D4: 0A0C56FA FF015018
	v_mfma_f32_16x16x32_fp8_fp8 v[12:15], a[64:65], a[56:57], 0// 0000000090DC: D3F3000C 1A027140
	buffer_load_dwordx4 a[108:111], v53, s[84:87], 0 offen offset:1024// 0000000090E4: E05C1400 80956C35
	v_mfma_f32_16x16x32_fp8_fp8 v[12:15], a[66:67], a[58:59], v[12:15]// 0000000090EC: D3F3000C 1C327542
	v_mfma_f32_16x16x32_fp8_fp8 v[12:15], a[68:69], a[60:61], v[12:15]// 0000000090F4: D3F3000C 1C327944
	v_mfma_f32_16x16x32_fp8_fp8 v[12:15], a[70:71], a[62:63], v[12:15]// 0000000090FC: D3F3000C 1C327D46
	v_fma_f32 v64, v8, v4, v64                                 // 000000009104: D1CB0040 05020908
	v_fma_f32 v65, v9, v4, v65                                 // 00000000910C: D1CB0041 05060909
	v_fma_f32 v66, v10, v4, v66                                // 000000009114: D1CB0042 050A090A
	v_fma_f32 v67, v11, v4, v67                                // 00000000911C: D1CB0043 050E090B
	s_waitcnt vmcnt(9)                                         // 000000009124: BF8C0F79
	v_mul_f32_dpp v4, v24, v40 row_newbcast:0 row_mask:0xf bank_mask:0xf// 000000009128: 0A0850FA FF015018
	v_mfma_f32_16x16x32_fp8_fp8 v[8:11], a[72:73], a[32:33], 0 // 000000009130: D3F30008 1A024148
	buffer_load_dwordx4 a[112:115], v54, s[84:87], 0 offen     // 000000009138: E05C1000 80957036
	v_mfma_f32_16x16x32_fp8_fp8 v[8:11], a[74:75], a[34:35], v[8:11]// 000000009140: D3F30008 1C22454A
	v_mfma_f32_16x16x32_fp8_fp8 v[8:11], a[76:77], a[36:37], v[8:11]// 000000009148: D3F30008 1C22494C
	v_mfma_f32_16x16x32_fp8_fp8 v[8:11], a[78:79], a[38:39], v[8:11]// 000000009150: D3F30008 1C224D4E
	v_fma_f32 v68, v12, v6, v68                                // 000000009158: D1CB0044 05120D0C
	v_fma_f32 v69, v13, v6, v69                                // 000000009160: D1CB0045 05160D0D
	v_fma_f32 v70, v14, v6, v70                                // 000000009168: D1CB0046 051A0D0E
	v_fma_f32 v71, v15, v6, v71                                // 000000009170: D1CB0047 051E0D0F
	v_mul_f32_dpp v6, v24, v41 row_newbcast:0 row_mask:0xf bank_mask:0xf// 000000009178: 0A0C52FA FF015018
	v_mfma_f32_16x16x32_fp8_fp8 v[12:15], a[72:73], a[40:41], 0// 000000009180: D3F3000C 1A025148
	buffer_load_dwordx4 a[116:119], v54, s[84:87], 0 offen offset:1024// 000000009188: E05C1400 80957436
	v_mfma_f32_16x16x32_fp8_fp8 v[12:15], a[74:75], a[42:43], v[12:15]// 000000009190: D3F3000C 1C32554A
	v_mfma_f32_16x16x32_fp8_fp8 v[12:15], a[76:77], a[44:45], v[12:15]// 000000009198: D3F3000C 1C32594C
	v_mfma_f32_16x16x32_fp8_fp8 v[12:15], a[78:79], a[46:47], v[12:15]// 0000000091A0: D3F3000C 1C325D4E
	v_fma_f32 v72, v8, v4, v72                                 // 0000000091A8: D1CB0048 05220908
	v_fma_f32 v73, v9, v4, v73                                 // 0000000091B0: D1CB0049 05260909
	v_fma_f32 v74, v10, v4, v74                                // 0000000091B8: D1CB004A 052A090A
	v_fma_f32 v75, v11, v4, v75                                // 0000000091C0: D1CB004B 052E090B
	v_mul_f32_dpp v4, v24, v42 row_newbcast:0 row_mask:0xf bank_mask:0xf// 0000000091C8: 0A0854FA FF015018
	v_mfma_f32_16x16x32_fp8_fp8 v[8:11], a[72:73], a[48:49], 0 // 0000000091D0: D3F30008 1A026148
	buffer_load_dwordx4 a[120:123], v55, s[84:87], 0 offen     // 0000000091D8: E05C1000 80957837
	v_mfma_f32_16x16x32_fp8_fp8 v[8:11], a[74:75], a[50:51], v[8:11]// 0000000091E0: D3F30008 1C22654A
	v_mfma_f32_16x16x32_fp8_fp8 v[8:11], a[76:77], a[52:53], v[8:11]// 0000000091E8: D3F30008 1C22694C
	v_mfma_f32_16x16x32_fp8_fp8 v[8:11], a[78:79], a[54:55], v[8:11]// 0000000091F0: D3F30008 1C226D4E
	v_fma_f32 v76, v12, v6, v76                                // 0000000091F8: D1CB004C 05320D0C
	v_fma_f32 v77, v13, v6, v77                                // 000000009200: D1CB004D 05360D0D
	v_fma_f32 v78, v14, v6, v78                                // 000000009208: D1CB004E 053A0D0E
	v_fma_f32 v79, v15, v6, v79                                // 000000009210: D1CB004F 053E0D0F
	v_mul_f32_dpp v6, v24, v43 row_newbcast:0 row_mask:0xf bank_mask:0xf// 000000009218: 0A0C56FA FF015018
	v_mfma_f32_16x16x32_fp8_fp8 v[12:15], a[72:73], a[56:57], 0// 000000009220: D3F3000C 1A027148
	buffer_load_dwordx4 a[124:127], v55, s[84:87], 0 offen offset:1024// 000000009228: E05C1400 80957C37
	buffer_load_dword v44, s[20:23], 0 offen lds               // 000000009230: E0511000 8005002C
	s_add_u32 m0, 0x100, s49                                   // 000000009238: 807C31FF 00000100
	v_mfma_f32_16x16x32_fp8_fp8 v[12:15], a[74:75], a[58:59], v[12:15]// 000000009240: D3F3000C 1C32754A
	v_mfma_f32_16x16x32_fp8_fp8 v[12:15], a[76:77], a[60:61], v[12:15]// 000000009248: D3F3000C 1C32794C
	buffer_load_dword v45, s[20:23], 0 offen lds               // 000000009250: E0511000 8005002D
	s_add_u32 m0, 0x200, s49                                   // 000000009258: 807C31FF 00000200
	v_mfma_f32_16x16x32_fp8_fp8 v[12:15], a[78:79], a[62:63], v[12:15]// 000000009260: D3F3000C 1C327D4E
	v_fma_f32 v80, v8, v4, v80                                 // 000000009268: D1CB0050 05420908
	v_fma_f32 v81, v9, v4, v81                                 // 000000009270: D1CB0051 05460909
	v_fma_f32 v82, v10, v4, v82                                // 000000009278: D1CB0052 054A090A
	v_fma_f32 v83, v11, v4, v83                                // 000000009280: D1CB0053 054E090B
	s_waitcnt vmcnt(13)                                        // 000000009288: BF8C0F7D
	v_mul_f32_dpp v4, v24, v40 row_newbcast:1 row_mask:0xf bank_mask:0xf// 00000000928C: 0A0850FA FF015118
	v_mfma_f32_16x16x32_fp8_fp8 v[8:11], a[80:81], a[32:33], 0 // 000000009294: D3F30008 1A024150
	buffer_load_dword v46, s[20:23], 0 offen lds               // 00000000929C: E0511000 8005002E
	s_add_u32 m0, 0x300, s49                                   // 0000000092A4: 807C31FF 00000300
	v_mfma_f32_16x16x32_fp8_fp8 v[8:11], a[82:83], a[34:35], v[8:11]// 0000000092AC: D3F30008 1C224552
	v_mfma_f32_16x16x32_fp8_fp8 v[8:11], a[84:85], a[36:37], v[8:11]// 0000000092B4: D3F30008 1C224954
	buffer_load_dword v47, s[20:23], 0 offen lds               // 0000000092BC: E0511000 8005002F
	s_add_u32 m0, 0x400, s49                                   // 0000000092C4: 807C31FF 00000400
	v_mfma_f32_16x16x32_fp8_fp8 v[8:11], a[86:87], a[38:39], v[8:11]// 0000000092CC: D3F30008 1C224D56
	v_fma_f32 v84, v12, v6, v84                                // 0000000092D4: D1CB0054 05520D0C
	v_fma_f32 v85, v13, v6, v85                                // 0000000092DC: D1CB0055 05560D0D
	v_fma_f32 v86, v14, v6, v86                                // 0000000092E4: D1CB0056 055A0D0E
	v_fma_f32 v87, v15, v6, v87                                // 0000000092EC: D1CB0057 055E0D0F
	v_mul_f32_dpp v6, v24, v41 row_newbcast:1 row_mask:0xf bank_mask:0xf// 0000000092F4: 0A0C52FA FF015118
	v_mfma_f32_16x16x32_fp8_fp8 v[12:15], a[80:81], a[40:41], 0// 0000000092FC: D3F3000C 1A025150
	buffer_load_dword v48, s[20:23], 0 offen lds               // 000000009304: E0511000 80050030
	s_add_u32 m0, 0x500, s49                                   // 00000000930C: 807C31FF 00000500
	v_mfma_f32_16x16x32_fp8_fp8 v[12:15], a[82:83], a[42:43], v[12:15]// 000000009314: D3F3000C 1C325552
	v_mfma_f32_16x16x32_fp8_fp8 v[12:15], a[84:85], a[44:45], v[12:15]// 00000000931C: D3F3000C 1C325954
	buffer_load_dword v49, s[20:23], 0 offen lds               // 000000009324: E0511000 80050031
	s_add_u32 m0, 0x600, s49                                   // 00000000932C: 807C31FF 00000600
	v_mfma_f32_16x16x32_fp8_fp8 v[12:15], a[86:87], a[46:47], v[12:15]// 000000009334: D3F3000C 1C325D56
	v_fma_f32 v88, v8, v4, v88                                 // 00000000933C: D1CB0058 05620908
	v_fma_f32 v89, v9, v4, v89                                 // 000000009344: D1CB0059 05660909
	v_fma_f32 v90, v10, v4, v90                                // 00000000934C: D1CB005A 056A090A
	v_fma_f32 v91, v11, v4, v91                                // 000000009354: D1CB005B 056E090B
	v_mul_f32_dpp v4, v24, v42 row_newbcast:1 row_mask:0xf bank_mask:0xf// 00000000935C: 0A0854FA FF015118
	v_mfma_f32_16x16x32_fp8_fp8 v[8:11], a[80:81], a[48:49], 0 // 000000009364: D3F30008 1A026150
	buffer_load_dword v50, s[20:23], 0 offen lds               // 00000000936C: E0511000 80050032
	s_add_u32 m0, 0x700, s49                                   // 000000009374: 807C31FF 00000700
	v_mfma_f32_16x16x32_fp8_fp8 v[8:11], a[82:83], a[50:51], v[8:11]// 00000000937C: D3F30008 1C226552
	v_mfma_f32_16x16x32_fp8_fp8 v[8:11], a[84:85], a[52:53], v[8:11]// 000000009384: D3F30008 1C226954
	buffer_load_dword v51, s[20:23], 0 offen lds               // 00000000938C: E0511000 80050033
	s_add_u32 m0, 0, s48                                       // 000000009394: 807C3080
	v_mfma_f32_16x16x32_fp8_fp8 v[8:11], a[86:87], a[54:55], v[8:11]// 000000009398: D3F30008 1C226D56
	v_fma_f32 v92, v12, v6, v92                                // 0000000093A0: D1CB005C 05720D0C
	v_fma_f32 v93, v13, v6, v93                                // 0000000093A8: D1CB005D 05760D0D
	v_fma_f32 v94, v14, v6, v94                                // 0000000093B0: D1CB005E 057A0D0E
	v_fma_f32 v95, v15, v6, v95                                // 0000000093B8: D1CB005F 057E0D0F
	v_mul_f32_dpp v6, v24, v43 row_newbcast:1 row_mask:0xf bank_mask:0xf// 0000000093C0: 0A0C56FA FF015118
	v_mfma_f32_16x16x32_fp8_fp8 v[12:15], a[80:81], a[56:57], 0// 0000000093C8: D3F3000C 1A027150
	buffer_load_dword v36, v28, s[28:31], 0 offen              // 0000000093D0: E0501000 8007241C
	v_mfma_f32_16x16x32_fp8_fp8 v[12:15], a[82:83], a[58:59], v[12:15]// 0000000093D8: D3F3000C 1C327552
	v_mfma_f32_16x16x32_fp8_fp8 v[12:15], a[84:85], a[60:61], v[12:15]// 0000000093E0: D3F3000C 1C327954
	buffer_load_dword v37, v29, s[28:31], 0 offen              // 0000000093E8: E0501000 8007251D
	v_mfma_f32_16x16x32_fp8_fp8 v[12:15], a[86:87], a[62:63], v[12:15]// 0000000093F0: D3F3000C 1C327D56
	v_fma_f32 v96, v8, v4, v96                                 // 0000000093F8: D1CB0060 05820908
	v_fma_f32 v97, v9, v4, v97                                 // 000000009400: D1CB0061 05860909
	v_fma_f32 v98, v10, v4, v98                                // 000000009408: D1CB0062 058A090A
	v_fma_f32 v99, v11, v4, v99                                // 000000009410: D1CB0063 058E090B
	s_waitcnt vmcnt(19)                                        // 000000009418: BF8C4F73
	v_mul_f32_dpp v4, v24, v40 row_newbcast:1 row_mask:0xf bank_mask:0xf// 00000000941C: 0A0850FA FF015118
	v_mfma_f32_16x16x32_fp8_fp8 v[8:11], a[88:89], a[32:33], 0 // 000000009424: D3F30008 1A024158
	buffer_load_dword v38, v30, s[28:31], 0 offen              // 00000000942C: E0501000 8007261E
	v_mfma_f32_16x16x32_fp8_fp8 v[8:11], a[90:91], a[34:35], v[8:11]// 000000009434: D3F30008 1C22455A
	v_mfma_f32_16x16x32_fp8_fp8 v[8:11], a[92:93], a[36:37], v[8:11]// 00000000943C: D3F30008 1C22495C
	buffer_load_dword v39, v31, s[28:31], 0 offen              // 000000009444: E0501000 8007271F
	v_mfma_f32_16x16x32_fp8_fp8 v[8:11], a[94:95], a[38:39], v[8:11]// 00000000944C: D3F30008 1C224D5E
	v_fma_f32 v100, v12, v6, v100                              // 000000009454: D1CB0064 05920D0C
	v_fma_f32 v101, v13, v6, v101                              // 00000000945C: D1CB0065 05960D0D
	v_fma_f32 v102, v14, v6, v102                              // 000000009464: D1CB0066 059A0D0E
	v_fma_f32 v103, v15, v6, v103                              // 00000000946C: D1CB0067 059E0D0F
	v_mul_f32_dpp v6, v24, v41 row_newbcast:1 row_mask:0xf bank_mask:0xf// 000000009474: 0A0C52FA FF015118
	v_mfma_f32_16x16x32_fp8_fp8 v[12:15], a[88:89], a[40:41], 0// 00000000947C: D3F3000C 1A025158
	v_mfma_f32_16x16x32_fp8_fp8 v[12:15], a[90:91], a[42:43], v[12:15]// 000000009484: D3F3000C 1C32555A
	v_mfma_f32_16x16x32_fp8_fp8 v[12:15], a[92:93], a[44:45], v[12:15]// 00000000948C: D3F3000C 1C32595C
	v_mfma_f32_16x16x32_fp8_fp8 v[12:15], a[94:95], a[46:47], v[12:15]// 000000009494: D3F3000C 1C325D5E
	v_fma_f32 v104, v8, v4, v104                               // 00000000949C: D1CB0068 05A20908
	v_fma_f32 v105, v9, v4, v105                               // 0000000094A4: D1CB0069 05A60909
	v_fma_f32 v106, v10, v4, v106                              // 0000000094AC: D1CB006A 05AA090A
	v_fma_f32 v107, v11, v4, v107                              // 0000000094B4: D1CB006B 05AE090B
	v_mul_f32_dpp v4, v24, v42 row_newbcast:1 row_mask:0xf bank_mask:0xf// 0000000094BC: 0A0854FA FF015118
	v_mfma_f32_16x16x32_fp8_fp8 v[8:11], a[88:89], a[48:49], 0 // 0000000094C4: D3F30008 1A026158
	v_mfma_f32_16x16x32_fp8_fp8 v[8:11], a[90:91], a[50:51], v[8:11]// 0000000094CC: D3F30008 1C22655A
	v_mfma_f32_16x16x32_fp8_fp8 v[8:11], a[92:93], a[52:53], v[8:11]// 0000000094D4: D3F30008 1C22695C
	v_mfma_f32_16x16x32_fp8_fp8 v[8:11], a[94:95], a[54:55], v[8:11]// 0000000094DC: D3F30008 1C226D5E
	v_fma_f32 v108, v12, v6, v108                              // 0000000094E4: D1CB006C 05B20D0C
	v_fma_f32 v109, v13, v6, v109                              // 0000000094EC: D1CB006D 05B60D0D
	v_fma_f32 v110, v14, v6, v110                              // 0000000094F4: D1CB006E 05BA0D0E
	v_fma_f32 v111, v15, v6, v111                              // 0000000094FC: D1CB006F 05BE0D0F
	v_mul_f32_dpp v6, v24, v43 row_newbcast:1 row_mask:0xf bank_mask:0xf// 000000009504: 0A0C56FA FF015118
	v_mfma_f32_16x16x32_fp8_fp8 v[12:15], a[88:89], a[56:57], 0// 00000000950C: D3F3000C 1A027158
	v_mfma_f32_16x16x32_fp8_fp8 v[12:15], a[90:91], a[58:59], v[12:15]// 000000009514: D3F3000C 1C32755A
	s_add_u32 s60, 0x80, s80                                   // 00000000951C: 803C50FF 00000080
	s_cmp_lt_u32 s60, s81                                      // 000000009524: BF0A513C
	s_cselect_b32 s83, s83, 0                                  // 000000009528: 85538053
	s_cselect_b32 s4, s4, 0                                    // 00000000952C: 85048004
	v_mfma_f32_16x16x32_fp8_fp8 v[12:15], a[92:93], a[60:61], v[12:15]// 000000009530: D3F3000C 1C32795C
	s_add_u32 s32, s4, s32                                     // 000000009538: 80202004
	s_addc_u32 s33, 0, s33                                     // 00000000953C: 82212180
	v_mfma_f32_16x16x32_fp8_fp8 v[12:15], a[94:95], a[62:63], v[12:15]// 000000009540: D3F3000C 1C327D5E
	v_fma_f32 v112, v8, v4, v112                               // 000000009548: D1CB0070 05C20908
	v_fma_f32 v113, v9, v4, v113                               // 000000009550: D1CB0071 05C60909
	v_fma_f32 v114, v10, v4, v114                              // 000000009558: D1CB0072 05CA090A
	v_fma_f32 v115, v11, v4, v115                              // 000000009560: D1CB0073 05CE090B
	v_fma_f32 v116, v12, v6, v116                              // 000000009568: D1CB0074 05D20D0C
	v_fma_f32 v117, v13, v6, v117                              // 000000009570: D1CB0075 05D60D0D
	v_fma_f32 v118, v14, v6, v118                              // 000000009578: D1CB0076 05DA0D0E
	v_fma_f32 v119, v15, v6, v119                              // 000000009580: D1CB0077 05DE0D0F
	s_waitcnt vmcnt(12)                                        // 000000009588: BF8C0F7C
	v_mul_f32_dpp v4, v27, v40 row_newbcast:0 row_mask:0xf bank_mask:0xf// 00000000958C: 0A0850FA FF01501B
	v_mfma_f32_16x16x32_fp8_fp8 v[8:11], a[96:97], a[32:33], 0 // 000000009594: D3F30008 1A024160
	buffer_load_dword v24, v22, s[32:35], 0 offen              // 00000000959C: E0501000 80081816
	buffer_load_dwordx4 a[64:67], v52, s[24:27], 0 offen       // 0000000095A4: E05C1000 80864034
	v_mfma_f32_16x16x32_fp8_fp8 v[8:11], a[98:99], a[34:35], v[8:11]// 0000000095AC: D3F30008 1C224562
	v_mfma_f32_16x16x32_fp8_fp8 v[8:11], a[100:101], a[36:37], v[8:11]// 0000000095B4: D3F30008 1C224964
	ds_read_b128 a[0:3], v2                                    // 0000000095BC: DBFE0000 00000002
	ds_read_b128 a[4:7], v2 offset:64                          // 0000000095C4: DBFE0040 04000002
	v_mfma_f32_16x16x32_fp8_fp8 v[8:11], a[102:103], a[38:39], v[8:11]// 0000000095CC: D3F30008 1C224D66
	v_mfma_f32_16x16x32_fp8_fp8 v[12:15], a[104:105], a[32:33], 0// 0000000095D4: D3F3000C 1A024168
	buffer_load_dwordx4 a[68:71], v52, s[24:27], 0 offen offset:1024// 0000000095DC: E05C1400 80864434
	v_mfma_f32_16x16x32_fp8_fp8 v[12:15], a[106:107], a[34:35], v[12:15]// 0000000095E4: D3F3000C 1C32456A
	v_mfma_f32_16x16x32_fp8_fp8 v[12:15], a[108:109], a[36:37], v[12:15]// 0000000095EC: D3F3000C 1C32496C
	ds_read_b128 a[8:11], v2 offset:512                        // 0000000095F4: DBFE0200 08000002
	ds_read_b128 a[12:15], v2 offset:576                       // 0000000095FC: DBFE0240 0C000002
	v_mfma_f32_16x16x32_fp8_fp8 v[12:15], a[110:111], a[38:39], v[12:15]// 000000009604: D3F3000C 1C324D6E
	v_fma_f32 v120, v8, v4, v120                               // 00000000960C: D1CB0078 05E20908
	v_fma_f32 v121, v9, v4, v121                               // 000000009614: D1CB0079 05E60909
	v_fma_f32 v122, v10, v4, v122                              // 00000000961C: D1CB007A 05EA090A
	v_fma_f32 v123, v11, v4, v123                              // 000000009624: D1CB007B 05EE090B
	v_mul_f32_dpp v6, v27, v40 row_newbcast:1 row_mask:0xf bank_mask:0xf// 00000000962C: 0A0C50FA FF01511B
	v_mfma_f32_16x16x32_fp8_fp8 v[8:11], a[112:113], a[32:33], 0// 000000009634: D3F30008 1A024170
	buffer_load_dwordx4 a[72:75], v53, s[24:27], 0 offen       // 00000000963C: E05C1000 80864835
	v_mfma_f32_16x16x32_fp8_fp8 v[8:11], a[114:115], a[34:35], v[8:11]// 000000009644: D3F30008 1C224572
	v_mfma_f32_16x16x32_fp8_fp8 v[8:11], a[116:117], a[36:37], v[8:11]// 00000000964C: D3F30008 1C224974
	ds_read_b128 a[16:19], v2 offset:1024                      // 000000009654: DBFE0400 10000002
	ds_read_b128 a[20:23], v2 offset:1088                      // 00000000965C: DBFE0440 14000002
	v_mfma_f32_16x16x32_fp8_fp8 v[8:11], a[118:119], a[38:39], v[8:11]// 000000009664: D3F30008 1C224D76
	v_fma_f32 v136, v12, v4, v136                              // 00000000966C: D1CB0088 0622090C
	v_fma_f32 v137, v13, v4, v137                              // 000000009674: D1CB0089 0626090D
	v_fma_f32 v138, v14, v4, v138                              // 00000000967C: D1CB008A 062A090E
	v_fma_f32 v139, v15, v4, v139                              // 000000009684: D1CB008B 062E090F
	v_mfma_f32_16x16x32_fp8_fp8 v[12:15], a[120:121], a[32:33], 0// 00000000968C: D3F3000C 1A024178
	buffer_load_dwordx4 a[76:79], v53, s[24:27], 0 offen offset:1024// 000000009694: E05C1400 80864C35
	v_mfma_f32_16x16x32_fp8_fp8 v[12:15], a[122:123], a[34:35], v[12:15]// 00000000969C: D3F3000C 1C32457A
	v_mfma_f32_16x16x32_fp8_fp8 v[12:15], a[124:125], a[36:37], v[12:15]// 0000000096A4: D3F3000C 1C32497C
	ds_read_b128 a[24:27], v2 offset:1536                      // 0000000096AC: DBFE0600 18000002
	ds_read_b128 a[28:31], v2 offset:1600                      // 0000000096B4: DBFE0640 1C000002
	v_mfma_f32_16x16x32_fp8_fp8 v[12:15], a[126:127], a[38:39], v[12:15]// 0000000096BC: D3F3000C 1C324D7E
	v_fma_f32 v152, v8, v6, v152                               // 0000000096C4: D1CB0098 06620D08
	v_fma_f32 v153, v9, v6, v153                               // 0000000096CC: D1CB0099 06660D09
	v_fma_f32 v154, v10, v6, v154                              // 0000000096D4: D1CB009A 066A0D0A
	v_fma_f32 v155, v11, v6, v155                              // 0000000096DC: D1CB009B 066E0D0B
	v_mul_f32_dpp v4, v27, v41 row_newbcast:0 row_mask:0xf bank_mask:0xf// 0000000096E4: 0A0852FA FF01501B
	v_mfma_f32_16x16x32_fp8_fp8 v[8:11], a[96:97], a[40:41], 0 // 0000000096EC: D3F30008 1A025160
	buffer_load_dwordx4 a[80:83], v54, s[24:27], 0 offen       // 0000000096F4: E05C1000 80865036
	v_mfma_f32_16x16x32_fp8_fp8 v[8:11], a[98:99], a[42:43], v[8:11]// 0000000096FC: D3F30008 1C225562
	v_mfma_f32_16x16x32_fp8_fp8 v[8:11], a[100:101], a[44:45], v[8:11]// 000000009704: D3F30008 1C225964
	v_mfma_f32_16x16x32_fp8_fp8 v[8:11], a[102:103], a[46:47], v[8:11]// 00000000970C: D3F30008 1C225D66
	v_fma_f32 v168, v12, v6, v168                              // 000000009714: D1CB00A8 06A20D0C
	v_fma_f32 v169, v13, v6, v169                              // 00000000971C: D1CB00A9 06A60D0D
	v_fma_f32 v170, v14, v6, v170                              // 000000009724: D1CB00AA 06AA0D0E
	v_fma_f32 v171, v15, v6, v171                              // 00000000972C: D1CB00AB 06AE0D0F
	v_mfma_f32_16x16x32_fp8_fp8 v[12:15], a[104:105], a[40:41], 0// 000000009734: D3F3000C 1A025168
	buffer_load_dwordx4 a[84:87], v54, s[24:27], 0 offen offset:1024// 00000000973C: E05C1400 80865436
	v_mfma_f32_16x16x32_fp8_fp8 v[12:15], a[106:107], a[42:43], v[12:15]// 000000009744: D3F3000C 1C32556A
	v_mfma_f32_16x16x32_fp8_fp8 v[12:15], a[108:109], a[44:45], v[12:15]// 00000000974C: D3F3000C 1C32596C
	v_mfma_f32_16x16x32_fp8_fp8 v[12:15], a[110:111], a[46:47], v[12:15]// 000000009754: D3F3000C 1C325D6E
	v_fma_f32 v124, v8, v4, v124                               // 00000000975C: D1CB007C 05F20908
	v_fma_f32 v125, v9, v4, v125                               // 000000009764: D1CB007D 05F60909
	v_fma_f32 v126, v10, v4, v126                              // 00000000976C: D1CB007E 05FA090A
	v_fma_f32 v127, v11, v4, v127                              // 000000009774: D1CB007F 05FE090B
	v_mul_f32_dpp v6, v27, v41 row_newbcast:1 row_mask:0xf bank_mask:0xf// 00000000977C: 0A0C52FA FF01511B
	v_mfma_f32_16x16x32_fp8_fp8 v[8:11], a[112:113], a[40:41], 0// 000000009784: D3F30008 1A025170
	buffer_load_dwordx4 a[88:91], v55, s[24:27], 0 offen       // 00000000978C: E05C1000 80865837
	v_mfma_f32_16x16x32_fp8_fp8 v[8:11], a[114:115], a[42:43], v[8:11]// 000000009794: D3F30008 1C225572
	v_mfma_f32_16x16x32_fp8_fp8 v[8:11], a[116:117], a[44:45], v[8:11]// 00000000979C: D3F30008 1C225974
	v_mfma_f32_16x16x32_fp8_fp8 v[8:11], a[118:119], a[46:47], v[8:11]// 0000000097A4: D3F30008 1C225D76
	v_fma_f32 v140, v12, v4, v140                              // 0000000097AC: D1CB008C 0632090C
	v_fma_f32 v141, v13, v4, v141                              // 0000000097B4: D1CB008D 0636090D
	v_fma_f32 v142, v14, v4, v142                              // 0000000097BC: D1CB008E 063A090E
	v_fma_f32 v143, v15, v4, v143                              // 0000000097C4: D1CB008F 063E090F
	v_mfma_f32_16x16x32_fp8_fp8 v[12:15], a[120:121], a[40:41], 0// 0000000097CC: D3F3000C 1A025178
	buffer_load_dwordx4 a[92:95], v55, s[24:27], 0 offen offset:1024// 0000000097D4: E05C1400 80865C37
	v_mfma_f32_16x16x32_fp8_fp8 v[12:15], a[122:123], a[42:43], v[12:15]// 0000000097DC: D3F3000C 1C32557A
	v_mfma_f32_16x16x32_fp8_fp8 v[12:15], a[124:125], a[44:45], v[12:15]// 0000000097E4: D3F3000C 1C32597C
	v_mfma_f32_16x16x32_fp8_fp8 v[12:15], a[126:127], a[46:47], v[12:15]// 0000000097EC: D3F3000C 1C325D7E
	v_fma_f32 v156, v8, v6, v156                               // 0000000097F4: D1CB009C 06720D08
	v_fma_f32 v157, v9, v6, v157                               // 0000000097FC: D1CB009D 06760D09
	v_fma_f32 v158, v10, v6, v158                              // 000000009804: D1CB009E 067A0D0A
	v_fma_f32 v159, v11, v6, v159                              // 00000000980C: D1CB009F 067E0D0B
	v_mul_f32_dpp v4, v27, v42 row_newbcast:0 row_mask:0xf bank_mask:0xf// 000000009814: 0A0854FA FF01501B
	v_mfma_f32_16x16x32_fp8_fp8 v[8:11], a[96:97], a[48:49], 0 // 00000000981C: D3F30008 1A026160
	v_mfma_f32_16x16x32_fp8_fp8 v[8:11], a[98:99], a[50:51], v[8:11]// 000000009824: D3F30008 1C226562
	v_mfma_f32_16x16x32_fp8_fp8 v[8:11], a[100:101], a[52:53], v[8:11]// 00000000982C: D3F30008 1C226964
	v_mfma_f32_16x16x32_fp8_fp8 v[8:11], a[102:103], a[54:55], v[8:11]// 000000009834: D3F30008 1C226D66
	v_fma_f32 v172, v12, v6, v172                              // 00000000983C: D1CB00AC 06B20D0C
	v_fma_f32 v173, v13, v6, v173                              // 000000009844: D1CB00AD 06B60D0D
	v_fma_f32 v174, v14, v6, v174                              // 00000000984C: D1CB00AE 06BA0D0E
	v_fma_f32 v175, v15, v6, v175                              // 000000009854: D1CB00AF 06BE0D0F
	v_mfma_f32_16x16x32_fp8_fp8 v[12:15], a[104:105], a[48:49], 0// 00000000985C: D3F3000C 1A026168
	v_mfma_f32_16x16x32_fp8_fp8 v[12:15], a[106:107], a[50:51], v[12:15]// 000000009864: D3F3000C 1C32656A
	v_mfma_f32_16x16x32_fp8_fp8 v[12:15], a[108:109], a[52:53], v[12:15]// 00000000986C: D3F3000C 1C32696C
	v_mfma_f32_16x16x32_fp8_fp8 v[12:15], a[110:111], a[54:55], v[12:15]// 000000009874: D3F3000C 1C326D6E
	v_fma_f32 v128, v8, v4, v128                               // 00000000987C: D1CB0080 06020908
	v_fma_f32 v129, v9, v4, v129                               // 000000009884: D1CB0081 06060909
	v_fma_f32 v130, v10, v4, v130                              // 00000000988C: D1CB0082 060A090A
	v_fma_f32 v131, v11, v4, v131                              // 000000009894: D1CB0083 060E090B
	v_mul_f32_dpp v6, v27, v42 row_newbcast:1 row_mask:0xf bank_mask:0xf// 00000000989C: 0A0C54FA FF01511B
	v_mfma_f32_16x16x32_fp8_fp8 v[8:11], a[112:113], a[48:49], 0// 0000000098A4: D3F30008 1A026170
	v_mfma_f32_16x16x32_fp8_fp8 v[8:11], a[114:115], a[50:51], v[8:11]// 0000000098AC: D3F30008 1C226572
	v_mfma_f32_16x16x32_fp8_fp8 v[8:11], a[116:117], a[52:53], v[8:11]// 0000000098B4: D3F30008 1C226974
	v_mfma_f32_16x16x32_fp8_fp8 v[8:11], a[118:119], a[54:55], v[8:11]// 0000000098BC: D3F30008 1C226D76
	v_fma_f32 v144, v12, v4, v144                              // 0000000098C4: D1CB0090 0642090C
	v_fma_f32 v145, v13, v4, v145                              // 0000000098CC: D1CB0091 0646090D
	v_fma_f32 v146, v14, v4, v146                              // 0000000098D4: D1CB0092 064A090E
	v_fma_f32 v147, v15, v4, v147                              // 0000000098DC: D1CB0093 064E090F
	v_mfma_f32_16x16x32_fp8_fp8 v[12:15], a[120:121], a[48:49], 0// 0000000098E4: D3F3000C 1A026178
	v_mfma_f32_16x16x32_fp8_fp8 v[12:15], a[122:123], a[50:51], v[12:15]// 0000000098EC: D3F3000C 1C32657A
	v_mfma_f32_16x16x32_fp8_fp8 v[12:15], a[124:125], a[52:53], v[12:15]// 0000000098F4: D3F3000C 1C32697C
	v_mfma_f32_16x16x32_fp8_fp8 v[12:15], a[126:127], a[54:55], v[12:15]// 0000000098FC: D3F3000C 1C326D7E
	v_fma_f32 v160, v8, v6, v160                               // 000000009904: D1CB00A0 06820D08
	v_fma_f32 v161, v9, v6, v161                               // 00000000990C: D1CB00A1 06860D09
	v_fma_f32 v162, v10, v6, v162                              // 000000009914: D1CB00A2 068A0D0A
	v_fma_f32 v163, v11, v6, v163                              // 00000000991C: D1CB00A3 068E0D0B
	v_mul_f32_dpp v4, v27, v43 row_newbcast:0 row_mask:0xf bank_mask:0xf// 000000009924: 0A0856FA FF01501B
	v_mfma_f32_16x16x32_fp8_fp8 v[8:11], a[96:97], a[56:57], 0 // 00000000992C: D3F30008 1A027160
	v_mfma_f32_16x16x32_fp8_fp8 v[8:11], a[98:99], a[58:59], v[8:11]// 000000009934: D3F30008 1C227562
	v_mfma_f32_16x16x32_fp8_fp8 v[8:11], a[100:101], a[60:61], v[8:11]// 00000000993C: D3F30008 1C227964
	v_mfma_f32_16x16x32_fp8_fp8 v[8:11], a[102:103], a[62:63], v[8:11]// 000000009944: D3F30008 1C227D66
	v_fma_f32 v176, v12, v6, v176                              // 00000000994C: D1CB00B0 06C20D0C
	v_fma_f32 v177, v13, v6, v177                              // 000000009954: D1CB00B1 06C60D0D
	v_fma_f32 v178, v14, v6, v178                              // 00000000995C: D1CB00B2 06CA0D0E
	v_fma_f32 v179, v15, v6, v179                              // 000000009964: D1CB00B3 06CE0D0F
	v_mfma_f32_16x16x32_fp8_fp8 v[12:15], a[104:105], a[56:57], 0// 00000000996C: D3F3000C 1A027168
	v_mfma_f32_16x16x32_fp8_fp8 v[12:15], a[106:107], a[58:59], v[12:15]// 000000009974: D3F3000C 1C32756A
	v_mfma_f32_16x16x32_fp8_fp8 v[12:15], a[108:109], a[60:61], v[12:15]// 00000000997C: D3F3000C 1C32796C
	v_mfma_f32_16x16x32_fp8_fp8 v[12:15], a[110:111], a[62:63], v[12:15]// 000000009984: D3F3000C 1C327D6E
	v_fma_f32 v132, v8, v4, v132                               // 00000000998C: D1CB0084 06120908
	v_fma_f32 v133, v9, v4, v133                               // 000000009994: D1CB0085 06160909
	v_fma_f32 v134, v10, v4, v134                              // 00000000999C: D1CB0086 061A090A
	v_fma_f32 v135, v11, v4, v135                              // 0000000099A4: D1CB0087 061E090B
	v_mul_f32_dpp v6, v27, v43 row_newbcast:1 row_mask:0xf bank_mask:0xf// 0000000099AC: 0A0C56FA FF01511B
	v_mfma_f32_16x16x32_fp8_fp8 v[8:11], a[112:113], a[56:57], 0// 0000000099B4: D3F30008 1A027170
	v_mfma_f32_16x16x32_fp8_fp8 v[8:11], a[114:115], a[58:59], v[8:11]// 0000000099BC: D3F30008 1C227572
	v_mfma_f32_16x16x32_fp8_fp8 v[8:11], a[116:117], a[60:61], v[8:11]// 0000000099C4: D3F30008 1C227974
	s_add_u32 s60, 0x180, s80                                  // 0000000099CC: 803C50FF 00000180
	s_cmp_lt_u32 s60, s81                                      // 0000000099D4: BF0A513C
	s_cselect_b32 s57, s57, 0                                  // 0000000099D8: 85398039
	s_cselect_b32 s3, s3, 0                                    // 0000000099DC: 85038003
	v_mfma_f32_16x16x32_fp8_fp8 v[8:11], a[118:119], a[62:63], v[8:11]// 0000000099E0: D3F30008 1C227D76
	s_add_u32 s60, 0x100, s80                                  // 0000000099E8: 803C50FF 00000100
	s_cmp_lt_u32 s60, s81                                      // 0000000099F0: BF0A513C
	s_cselect_b32 s58, s58, 0                                  // 0000000099F4: 853A803A
	v_fma_f32 v148, v12, v4, v148                              // 0000000099F8: D1CB0094 0652090C
	v_fma_f32 v149, v13, v4, v149                              // 000000009A00: D1CB0095 0656090D
	v_fma_f32 v150, v14, v4, v150                              // 000000009A08: D1CB0096 065A090E
	v_fma_f32 v151, v15, v4, v151                              // 000000009A10: D1CB0097 065E090F
	v_mfma_f32_16x16x32_fp8_fp8 v[12:15], a[120:121], a[56:57], 0// 000000009A18: D3F3000C 1A027178
	s_add_u32 s24, s58, s24                                    // 000000009A20: 8018183A
	s_addc_u32 s25, 0, s25                                     // 000000009A24: 82191980
	v_mfma_f32_16x16x32_fp8_fp8 v[12:15], a[122:123], a[58:59], v[12:15]// 000000009A28: D3F3000C 1C32757A
	s_add_u32 s20, s57, s20                                    // 000000009A30: 80141439
	s_addc_u32 s21, 0, s21                                     // 000000009A34: 82151580
	s_add_u32 s28, s3, s28                                     // 000000009A38: 801C1C03
	s_addc_u32 s29, 0, s29                                     // 000000009A3C: 821D1D80
	v_mfma_f32_16x16x32_fp8_fp8 v[12:15], a[124:125], a[60:61], v[12:15]// 000000009A40: D3F3000C 1C32797C
	s_add_u32 s84, s83, s84                                    // 000000009A48: 80545453
	s_addc_u32 s85, 0, s85                                     // 000000009A4C: 82555580
	v_mfma_f32_16x16x32_fp8_fp8 v[12:15], a[126:127], a[62:63], v[12:15]// 000000009A50: D3F3000C 1C327D7E
	v_fma_f32 v164, v8, v6, v164                               // 000000009A58: D1CB00A4 06920D08
	v_fma_f32 v165, v9, v6, v165                               // 000000009A60: D1CB00A5 06960D09
	v_fma_f32 v166, v10, v6, v166                              // 000000009A68: D1CB00A6 069A0D0A
	v_fma_f32 v167, v11, v6, v167                              // 000000009A70: D1CB00A7 069E0D0B
	v_fma_f32 v180, v12, v6, v180                              // 000000009A78: D1CB00B4 06D20D0C
	v_fma_f32 v181, v13, v6, v181                              // 000000009A80: D1CB00B5 06D60D0D
	v_fma_f32 v182, v14, v6, v182                              // 000000009A88: D1CB00B6 06DA0D0E
	v_fma_f32 v183, v15, v6, v183                              // 000000009A90: D1CB00B7 06DE0D0F
	s_addk_i32 s80, 0x80                                       // 000000009A98: B7500080
	s_cmp_lt_i32 s80, s81                                      // 000000009A9C: BF045150
	s_cbranch_scc0 label_1C2D                                  // 000000009AA0: BF840001
	s_branch label_16CC                                        // 000000009AA4: BF82FA9F

0000000000009aa8 <label_1C2D>:
	s_cmp_eq_u32 s88, 0                                        // 000000009AA8: BF068058
	s_cbranch_scc0 label_2582                                  // 000000009AAC: BF840953
	s_cmp_eq_u32 s89, 0                                        // 000000009AB0: BF068059
	s_cbranch_scc1 label_1EB6                                  // 000000009AB4: BF850285
	v_mov_b32_e32 v8, v1                                       // 000000009AB8: 7E100301
	v_mov_b32_e32 v9, v1                                       // 000000009ABC: 7E120301
	s_mov_b32 s60, s6                                          // 000000009AC0: BEBC0006
	s_mov_b32 s61, s6                                          // 000000009AC4: BEBD0006
	v_pk_mul_f32 v[4:5], v[56:57], v[56:57]                    // 000000009AC8: D3B14004 18027138
	v_pk_mul_f32 v[6:7], v[58:59], v[58:59]                    // 000000009AD0: D3B14006 1802753A
	v_pk_fma_f32 v[4:5], v[4:5], s[78:79], v[8:9]              // 000000009AD8: D3B04004 1C209D04
	v_pk_fma_f32 v[6:7], v[6:7], s[78:79], v[8:9]              // 000000009AE0: D3B04006 1C209D06
	v_pk_mul_f32 v[4:5], v[4:5], v[56:57]                      // 000000009AE8: D3B14004 18027104
	v_pk_mul_f32 v[6:7], v[6:7], v[58:59]                      // 000000009AF0: D3B14006 18027506
	v_pk_mul_f32 v[4:5], v[4:5], s[60:61]                      // 000000009AF8: D3B14004 18007904
	v_pk_mul_f32 v[6:7], v[6:7], s[60:61]                      // 000000009B00: D3B14006 18007906
	v_exp_f32_e32 v4, v4                                       // 000000009B08: 7E084104
	v_exp_f32_e32 v5, v5                                       // 000000009B0C: 7E0A4105
	v_exp_f32_e32 v6, v6                                       // 000000009B10: 7E0C4106
	v_exp_f32_e32 v7, v7                                       // 000000009B14: 7E0E4107
	v_add_f32_e64 v4, v4, 1.0                                  // 000000009B18: D1010004 0001E504
	v_add_f32_e64 v5, v5, 1.0                                  // 000000009B20: D1010005 0001E505
	v_add_f32_e64 v6, v6, 1.0                                  // 000000009B28: D1010006 0001E506
	v_add_f32_e64 v7, v7, 1.0                                  // 000000009B30: D1010007 0001E507
	v_rcp_f32_e32 v4, v4                                       // 000000009B38: 7E084504
	v_rcp_f32_e32 v5, v5                                       // 000000009B3C: 7E0A4505
	v_rcp_f32_e32 v6, v6                                       // 000000009B40: 7E0C4506
	v_rcp_f32_e32 v7, v7                                       // 000000009B44: 7E0E4507
	v_mul_f32_e32 v56, v56, v4                                 // 000000009B48: 0A700938
	v_mul_f32_e32 v57, v57, v5                                 // 000000009B4C: 0A720B39
	v_mul_f32_e32 v58, v58, v6                                 // 000000009B50: 0A740D3A
	v_mul_f32_e32 v59, v59, v7                                 // 000000009B54: 0A760F3B
	v_mul_f32_e32 v56, v56, v120                               // 000000009B58: 0A70F138
	v_mul_f32_e32 v57, v57, v121                               // 000000009B5C: 0A72F339
	v_mul_f32_e32 v58, v58, v122                               // 000000009B60: 0A74F53A
	v_mul_f32_e32 v59, v59, v123                               // 000000009B64: 0A76F73B
	v_pk_mul_f32 v[4:5], v[60:61], v[60:61]                    // 000000009B68: D3B14004 1802793C
	v_pk_mul_f32 v[6:7], v[62:63], v[62:63]                    // 000000009B70: D3B14006 18027D3E
	v_pk_fma_f32 v[4:5], v[4:5], s[78:79], v[8:9]              // 000000009B78: D3B04004 1C209D04
	v_pk_fma_f32 v[6:7], v[6:7], s[78:79], v[8:9]              // 000000009B80: D3B04006 1C209D06
	v_pk_mul_f32 v[4:5], v[4:5], v[60:61]                      // 000000009B88: D3B14004 18027904
	v_pk_mul_f32 v[6:7], v[6:7], v[62:63]                      // 000000009B90: D3B14006 18027D06
	v_pk_mul_f32 v[4:5], v[4:5], s[60:61]                      // 000000009B98: D3B14004 18007904
	v_pk_mul_f32 v[6:7], v[6:7], s[60:61]                      // 000000009BA0: D3B14006 18007906
	v_exp_f32_e32 v4, v4                                       // 000000009BA8: 7E084104
	v_exp_f32_e32 v5, v5                                       // 000000009BAC: 7E0A4105
	v_exp_f32_e32 v6, v6                                       // 000000009BB0: 7E0C4106
	v_exp_f32_e32 v7, v7                                       // 000000009BB4: 7E0E4107
	v_add_f32_e64 v4, v4, 1.0                                  // 000000009BB8: D1010004 0001E504
	v_add_f32_e64 v5, v5, 1.0                                  // 000000009BC0: D1010005 0001E505
	v_add_f32_e64 v6, v6, 1.0                                  // 000000009BC8: D1010006 0001E506
	v_add_f32_e64 v7, v7, 1.0                                  // 000000009BD0: D1010007 0001E507
	v_rcp_f32_e32 v4, v4                                       // 000000009BD8: 7E084504
	v_rcp_f32_e32 v5, v5                                       // 000000009BDC: 7E0A4505
	v_rcp_f32_e32 v6, v6                                       // 000000009BE0: 7E0C4506
	v_rcp_f32_e32 v7, v7                                       // 000000009BE4: 7E0E4507
	v_mul_f32_e32 v60, v60, v4                                 // 000000009BE8: 0A78093C
	v_mul_f32_e32 v61, v61, v5                                 // 000000009BEC: 0A7A0B3D
	v_mul_f32_e32 v62, v62, v6                                 // 000000009BF0: 0A7C0D3E
	v_mul_f32_e32 v63, v63, v7                                 // 000000009BF4: 0A7E0F3F
	v_mul_f32_e32 v60, v60, v124                               // 000000009BF8: 0A78F93C
	v_mul_f32_e32 v61, v61, v125                               // 000000009BFC: 0A7AFB3D
	v_mul_f32_e32 v62, v62, v126                               // 000000009C00: 0A7CFD3E
	v_mul_f32_e32 v63, v63, v127                               // 000000009C04: 0A7EFF3F
	v_pk_mul_f32 v[4:5], v[64:65], v[64:65]                    // 000000009C08: D3B14004 18028140
	v_pk_mul_f32 v[6:7], v[66:67], v[66:67]                    // 000000009C10: D3B14006 18028542
	v_pk_fma_f32 v[4:5], v[4:5], s[78:79], v[8:9]              // 000000009C18: D3B04004 1C209D04
	v_pk_fma_f32 v[6:7], v[6:7], s[78:79], v[8:9]              // 000000009C20: D3B04006 1C209D06
	v_pk_mul_f32 v[4:5], v[4:5], v[64:65]                      // 000000009C28: D3B14004 18028104
	v_pk_mul_f32 v[6:7], v[6:7], v[66:67]                      // 000000009C30: D3B14006 18028506
	v_pk_mul_f32 v[4:5], v[4:5], s[60:61]                      // 000000009C38: D3B14004 18007904
	v_pk_mul_f32 v[6:7], v[6:7], s[60:61]                      // 000000009C40: D3B14006 18007906
	v_exp_f32_e32 v4, v4                                       // 000000009C48: 7E084104
	v_exp_f32_e32 v5, v5                                       // 000000009C4C: 7E0A4105
	v_exp_f32_e32 v6, v6                                       // 000000009C50: 7E0C4106
	v_exp_f32_e32 v7, v7                                       // 000000009C54: 7E0E4107
	v_add_f32_e64 v4, v4, 1.0                                  // 000000009C58: D1010004 0001E504
	v_add_f32_e64 v5, v5, 1.0                                  // 000000009C60: D1010005 0001E505
	v_add_f32_e64 v6, v6, 1.0                                  // 000000009C68: D1010006 0001E506
	v_add_f32_e64 v7, v7, 1.0                                  // 000000009C70: D1010007 0001E507
	v_rcp_f32_e32 v4, v4                                       // 000000009C78: 7E084504
	v_rcp_f32_e32 v5, v5                                       // 000000009C7C: 7E0A4505
	v_rcp_f32_e32 v6, v6                                       // 000000009C80: 7E0C4506
	v_rcp_f32_e32 v7, v7                                       // 000000009C84: 7E0E4507
	v_mul_f32_e32 v64, v64, v4                                 // 000000009C88: 0A800940
	v_mul_f32_e32 v65, v65, v5                                 // 000000009C8C: 0A820B41
	v_mul_f32_e32 v66, v66, v6                                 // 000000009C90: 0A840D42
	v_mul_f32_e32 v67, v67, v7                                 // 000000009C94: 0A860F43
	v_mul_f32_e32 v64, v64, v128                               // 000000009C98: 0A810140
	v_mul_f32_e32 v65, v65, v129                               // 000000009C9C: 0A830341
	v_mul_f32_e32 v66, v66, v130                               // 000000009CA0: 0A850542
	v_mul_f32_e32 v67, v67, v131                               // 000000009CA4: 0A870743
	v_pk_mul_f32 v[4:5], v[68:69], v[68:69]                    // 000000009CA8: D3B14004 18028944
	v_pk_mul_f32 v[6:7], v[70:71], v[70:71]                    // 000000009CB0: D3B14006 18028D46
	v_pk_fma_f32 v[4:5], v[4:5], s[78:79], v[8:9]              // 000000009CB8: D3B04004 1C209D04
	v_pk_fma_f32 v[6:7], v[6:7], s[78:79], v[8:9]              // 000000009CC0: D3B04006 1C209D06
	v_pk_mul_f32 v[4:5], v[4:5], v[68:69]                      // 000000009CC8: D3B14004 18028904
	v_pk_mul_f32 v[6:7], v[6:7], v[70:71]                      // 000000009CD0: D3B14006 18028D06
	v_pk_mul_f32 v[4:5], v[4:5], s[60:61]                      // 000000009CD8: D3B14004 18007904
	v_pk_mul_f32 v[6:7], v[6:7], s[60:61]                      // 000000009CE0: D3B14006 18007906
	v_exp_f32_e32 v4, v4                                       // 000000009CE8: 7E084104
	v_exp_f32_e32 v5, v5                                       // 000000009CEC: 7E0A4105
	v_exp_f32_e32 v6, v6                                       // 000000009CF0: 7E0C4106
	v_exp_f32_e32 v7, v7                                       // 000000009CF4: 7E0E4107
	v_add_f32_e64 v4, v4, 1.0                                  // 000000009CF8: D1010004 0001E504
	v_add_f32_e64 v5, v5, 1.0                                  // 000000009D00: D1010005 0001E505
	v_add_f32_e64 v6, v6, 1.0                                  // 000000009D08: D1010006 0001E506
	v_add_f32_e64 v7, v7, 1.0                                  // 000000009D10: D1010007 0001E507
	v_rcp_f32_e32 v4, v4                                       // 000000009D18: 7E084504
	v_rcp_f32_e32 v5, v5                                       // 000000009D1C: 7E0A4505
	v_rcp_f32_e32 v6, v6                                       // 000000009D20: 7E0C4506
	v_rcp_f32_e32 v7, v7                                       // 000000009D24: 7E0E4507
	v_mul_f32_e32 v68, v68, v4                                 // 000000009D28: 0A880944
	v_mul_f32_e32 v69, v69, v5                                 // 000000009D2C: 0A8A0B45
	v_mul_f32_e32 v70, v70, v6                                 // 000000009D30: 0A8C0D46
	v_mul_f32_e32 v71, v71, v7                                 // 000000009D34: 0A8E0F47
	v_mul_f32_e32 v68, v68, v132                               // 000000009D38: 0A890944
	v_mul_f32_e32 v69, v69, v133                               // 000000009D3C: 0A8B0B45
	v_mul_f32_e32 v70, v70, v134                               // 000000009D40: 0A8D0D46
	v_mul_f32_e32 v71, v71, v135                               // 000000009D44: 0A8F0F47
	v_pk_mul_f32 v[4:5], v[72:73], v[72:73]                    // 000000009D48: D3B14004 18029148
	v_pk_mul_f32 v[6:7], v[74:75], v[74:75]                    // 000000009D50: D3B14006 1802954A
	v_pk_fma_f32 v[4:5], v[4:5], s[78:79], v[8:9]              // 000000009D58: D3B04004 1C209D04
	v_pk_fma_f32 v[6:7], v[6:7], s[78:79], v[8:9]              // 000000009D60: D3B04006 1C209D06
	v_pk_mul_f32 v[4:5], v[4:5], v[72:73]                      // 000000009D68: D3B14004 18029104
	v_pk_mul_f32 v[6:7], v[6:7], v[74:75]                      // 000000009D70: D3B14006 18029506
	v_pk_mul_f32 v[4:5], v[4:5], s[60:61]                      // 000000009D78: D3B14004 18007904
	v_pk_mul_f32 v[6:7], v[6:7], s[60:61]                      // 000000009D80: D3B14006 18007906
	v_exp_f32_e32 v4, v4                                       // 000000009D88: 7E084104
	v_exp_f32_e32 v5, v5                                       // 000000009D8C: 7E0A4105
	v_exp_f32_e32 v6, v6                                       // 000000009D90: 7E0C4106
	v_exp_f32_e32 v7, v7                                       // 000000009D94: 7E0E4107
	v_add_f32_e64 v4, v4, 1.0                                  // 000000009D98: D1010004 0001E504
	v_add_f32_e64 v5, v5, 1.0                                  // 000000009DA0: D1010005 0001E505
	v_add_f32_e64 v6, v6, 1.0                                  // 000000009DA8: D1010006 0001E506
	v_add_f32_e64 v7, v7, 1.0                                  // 000000009DB0: D1010007 0001E507
	v_rcp_f32_e32 v4, v4                                       // 000000009DB8: 7E084504
	v_rcp_f32_e32 v5, v5                                       // 000000009DBC: 7E0A4505
	v_rcp_f32_e32 v6, v6                                       // 000000009DC0: 7E0C4506
	v_rcp_f32_e32 v7, v7                                       // 000000009DC4: 7E0E4507
	v_mul_f32_e32 v72, v72, v4                                 // 000000009DC8: 0A900948
	v_mul_f32_e32 v73, v73, v5                                 // 000000009DCC: 0A920B49
	v_mul_f32_e32 v74, v74, v6                                 // 000000009DD0: 0A940D4A
	v_mul_f32_e32 v75, v75, v7                                 // 000000009DD4: 0A960F4B
	v_mul_f32_e32 v72, v72, v136                               // 000000009DD8: 0A911148
	v_mul_f32_e32 v73, v73, v137                               // 000000009DDC: 0A931349
	v_mul_f32_e32 v74, v74, v138                               // 000000009DE0: 0A95154A
	v_mul_f32_e32 v75, v75, v139                               // 000000009DE4: 0A97174B
	v_pk_mul_f32 v[4:5], v[76:77], v[76:77]                    // 000000009DE8: D3B14004 1802994C
	v_pk_mul_f32 v[6:7], v[78:79], v[78:79]                    // 000000009DF0: D3B14006 18029D4E
	v_pk_fma_f32 v[4:5], v[4:5], s[78:79], v[8:9]              // 000000009DF8: D3B04004 1C209D04
	v_pk_fma_f32 v[6:7], v[6:7], s[78:79], v[8:9]              // 000000009E00: D3B04006 1C209D06
	v_pk_mul_f32 v[4:5], v[4:5], v[76:77]                      // 000000009E08: D3B14004 18029904
	v_pk_mul_f32 v[6:7], v[6:7], v[78:79]                      // 000000009E10: D3B14006 18029D06
	v_pk_mul_f32 v[4:5], v[4:5], s[60:61]                      // 000000009E18: D3B14004 18007904
	v_pk_mul_f32 v[6:7], v[6:7], s[60:61]                      // 000000009E20: D3B14006 18007906
	v_exp_f32_e32 v4, v4                                       // 000000009E28: 7E084104
	v_exp_f32_e32 v5, v5                                       // 000000009E2C: 7E0A4105
	v_exp_f32_e32 v6, v6                                       // 000000009E30: 7E0C4106
	v_exp_f32_e32 v7, v7                                       // 000000009E34: 7E0E4107
	v_add_f32_e64 v4, v4, 1.0                                  // 000000009E38: D1010004 0001E504
	v_add_f32_e64 v5, v5, 1.0                                  // 000000009E40: D1010005 0001E505
	v_add_f32_e64 v6, v6, 1.0                                  // 000000009E48: D1010006 0001E506
	v_add_f32_e64 v7, v7, 1.0                                  // 000000009E50: D1010007 0001E507
	v_rcp_f32_e32 v4, v4                                       // 000000009E58: 7E084504
	v_rcp_f32_e32 v5, v5                                       // 000000009E5C: 7E0A4505
	v_rcp_f32_e32 v6, v6                                       // 000000009E60: 7E0C4506
	v_rcp_f32_e32 v7, v7                                       // 000000009E64: 7E0E4507
	v_mul_f32_e32 v76, v76, v4                                 // 000000009E68: 0A98094C
	v_mul_f32_e32 v77, v77, v5                                 // 000000009E6C: 0A9A0B4D
	v_mul_f32_e32 v78, v78, v6                                 // 000000009E70: 0A9C0D4E
	v_mul_f32_e32 v79, v79, v7                                 // 000000009E74: 0A9E0F4F
	v_mul_f32_e32 v76, v76, v140                               // 000000009E78: 0A99194C
	v_mul_f32_e32 v77, v77, v141                               // 000000009E7C: 0A9B1B4D
	v_mul_f32_e32 v78, v78, v142                               // 000000009E80: 0A9D1D4E
	v_mul_f32_e32 v79, v79, v143                               // 000000009E84: 0A9F1F4F
	v_pk_mul_f32 v[4:5], v[80:81], v[80:81]                    // 000000009E88: D3B14004 1802A150
	v_pk_mul_f32 v[6:7], v[82:83], v[82:83]                    // 000000009E90: D3B14006 1802A552
	v_pk_fma_f32 v[4:5], v[4:5], s[78:79], v[8:9]              // 000000009E98: D3B04004 1C209D04
	v_pk_fma_f32 v[6:7], v[6:7], s[78:79], v[8:9]              // 000000009EA0: D3B04006 1C209D06
	v_pk_mul_f32 v[4:5], v[4:5], v[80:81]                      // 000000009EA8: D3B14004 1802A104
	v_pk_mul_f32 v[6:7], v[6:7], v[82:83]                      // 000000009EB0: D3B14006 1802A506
	v_pk_mul_f32 v[4:5], v[4:5], s[60:61]                      // 000000009EB8: D3B14004 18007904
	v_pk_mul_f32 v[6:7], v[6:7], s[60:61]                      // 000000009EC0: D3B14006 18007906
	v_exp_f32_e32 v4, v4                                       // 000000009EC8: 7E084104
	v_exp_f32_e32 v5, v5                                       // 000000009ECC: 7E0A4105
	v_exp_f32_e32 v6, v6                                       // 000000009ED0: 7E0C4106
	v_exp_f32_e32 v7, v7                                       // 000000009ED4: 7E0E4107
	v_add_f32_e64 v4, v4, 1.0                                  // 000000009ED8: D1010004 0001E504
	v_add_f32_e64 v5, v5, 1.0                                  // 000000009EE0: D1010005 0001E505
	v_add_f32_e64 v6, v6, 1.0                                  // 000000009EE8: D1010006 0001E506
	v_add_f32_e64 v7, v7, 1.0                                  // 000000009EF0: D1010007 0001E507
	v_rcp_f32_e32 v4, v4                                       // 000000009EF8: 7E084504
	v_rcp_f32_e32 v5, v5                                       // 000000009EFC: 7E0A4505
	v_rcp_f32_e32 v6, v6                                       // 000000009F00: 7E0C4506
	v_rcp_f32_e32 v7, v7                                       // 000000009F04: 7E0E4507
	v_mul_f32_e32 v80, v80, v4                                 // 000000009F08: 0AA00950
	v_mul_f32_e32 v81, v81, v5                                 // 000000009F0C: 0AA20B51
	v_mul_f32_e32 v82, v82, v6                                 // 000000009F10: 0AA40D52
	v_mul_f32_e32 v83, v83, v7                                 // 000000009F14: 0AA60F53
	v_mul_f32_e32 v80, v80, v144                               // 000000009F18: 0AA12150
	v_mul_f32_e32 v81, v81, v145                               // 000000009F1C: 0AA32351
	v_mul_f32_e32 v82, v82, v146                               // 000000009F20: 0AA52552
	v_mul_f32_e32 v83, v83, v147                               // 000000009F24: 0AA72753
	v_pk_mul_f32 v[4:5], v[84:85], v[84:85]                    // 000000009F28: D3B14004 1802A954
	v_pk_mul_f32 v[6:7], v[86:87], v[86:87]                    // 000000009F30: D3B14006 1802AD56
	v_pk_fma_f32 v[4:5], v[4:5], s[78:79], v[8:9]              // 000000009F38: D3B04004 1C209D04
	v_pk_fma_f32 v[6:7], v[6:7], s[78:79], v[8:9]              // 000000009F40: D3B04006 1C209D06
	v_pk_mul_f32 v[4:5], v[4:5], v[84:85]                      // 000000009F48: D3B14004 1802A904
	v_pk_mul_f32 v[6:7], v[6:7], v[86:87]                      // 000000009F50: D3B14006 1802AD06
	v_pk_mul_f32 v[4:5], v[4:5], s[60:61]                      // 000000009F58: D3B14004 18007904
	v_pk_mul_f32 v[6:7], v[6:7], s[60:61]                      // 000000009F60: D3B14006 18007906
	v_exp_f32_e32 v4, v4                                       // 000000009F68: 7E084104
	v_exp_f32_e32 v5, v5                                       // 000000009F6C: 7E0A4105
	v_exp_f32_e32 v6, v6                                       // 000000009F70: 7E0C4106
	v_exp_f32_e32 v7, v7                                       // 000000009F74: 7E0E4107
	v_add_f32_e64 v4, v4, 1.0                                  // 000000009F78: D1010004 0001E504
	v_add_f32_e64 v5, v5, 1.0                                  // 000000009F80: D1010005 0001E505
	v_add_f32_e64 v6, v6, 1.0                                  // 000000009F88: D1010006 0001E506
	v_add_f32_e64 v7, v7, 1.0                                  // 000000009F90: D1010007 0001E507
	v_rcp_f32_e32 v4, v4                                       // 000000009F98: 7E084504
	v_rcp_f32_e32 v5, v5                                       // 000000009F9C: 7E0A4505
	v_rcp_f32_e32 v6, v6                                       // 000000009FA0: 7E0C4506
	v_rcp_f32_e32 v7, v7                                       // 000000009FA4: 7E0E4507
	v_mul_f32_e32 v84, v84, v4                                 // 000000009FA8: 0AA80954
	v_mul_f32_e32 v85, v85, v5                                 // 000000009FAC: 0AAA0B55
	v_mul_f32_e32 v86, v86, v6                                 // 000000009FB0: 0AAC0D56
	v_mul_f32_e32 v87, v87, v7                                 // 000000009FB4: 0AAE0F57
	v_mul_f32_e32 v84, v84, v148                               // 000000009FB8: 0AA92954
	v_mul_f32_e32 v85, v85, v149                               // 000000009FBC: 0AAB2B55
	v_mul_f32_e32 v86, v86, v150                               // 000000009FC0: 0AAD2D56
	v_mul_f32_e32 v87, v87, v151                               // 000000009FC4: 0AAF2F57
	v_pk_mul_f32 v[4:5], v[88:89], v[88:89]                    // 000000009FC8: D3B14004 1802B158
	v_pk_mul_f32 v[6:7], v[90:91], v[90:91]                    // 000000009FD0: D3B14006 1802B55A
	v_pk_fma_f32 v[4:5], v[4:5], s[78:79], v[8:9]              // 000000009FD8: D3B04004 1C209D04
	v_pk_fma_f32 v[6:7], v[6:7], s[78:79], v[8:9]              // 000000009FE0: D3B04006 1C209D06
	v_pk_mul_f32 v[4:5], v[4:5], v[88:89]                      // 000000009FE8: D3B14004 1802B104
	v_pk_mul_f32 v[6:7], v[6:7], v[90:91]                      // 000000009FF0: D3B14006 1802B506
	v_pk_mul_f32 v[4:5], v[4:5], s[60:61]                      // 000000009FF8: D3B14004 18007904
	v_pk_mul_f32 v[6:7], v[6:7], s[60:61]                      // 00000000A000: D3B14006 18007906
	v_exp_f32_e32 v4, v4                                       // 00000000A008: 7E084104
	v_exp_f32_e32 v5, v5                                       // 00000000A00C: 7E0A4105
	v_exp_f32_e32 v6, v6                                       // 00000000A010: 7E0C4106
	v_exp_f32_e32 v7, v7                                       // 00000000A014: 7E0E4107
	v_add_f32_e64 v4, v4, 1.0                                  // 00000000A018: D1010004 0001E504
	v_add_f32_e64 v5, v5, 1.0                                  // 00000000A020: D1010005 0001E505
	v_add_f32_e64 v6, v6, 1.0                                  // 00000000A028: D1010006 0001E506
	v_add_f32_e64 v7, v7, 1.0                                  // 00000000A030: D1010007 0001E507
	v_rcp_f32_e32 v4, v4                                       // 00000000A038: 7E084504
	v_rcp_f32_e32 v5, v5                                       // 00000000A03C: 7E0A4505
	v_rcp_f32_e32 v6, v6                                       // 00000000A040: 7E0C4506
	v_rcp_f32_e32 v7, v7                                       // 00000000A044: 7E0E4507
	v_mul_f32_e32 v88, v88, v4                                 // 00000000A048: 0AB00958
	v_mul_f32_e32 v89, v89, v5                                 // 00000000A04C: 0AB20B59
	v_mul_f32_e32 v90, v90, v6                                 // 00000000A050: 0AB40D5A
	v_mul_f32_e32 v91, v91, v7                                 // 00000000A054: 0AB60F5B
	v_mul_f32_e32 v88, v88, v152                               // 00000000A058: 0AB13158
	v_mul_f32_e32 v89, v89, v153                               // 00000000A05C: 0AB33359
	v_mul_f32_e32 v90, v90, v154                               // 00000000A060: 0AB5355A
	v_mul_f32_e32 v91, v91, v155                               // 00000000A064: 0AB7375B
	v_pk_mul_f32 v[4:5], v[92:93], v[92:93]                    // 00000000A068: D3B14004 1802B95C
	v_pk_mul_f32 v[6:7], v[94:95], v[94:95]                    // 00000000A070: D3B14006 1802BD5E
	v_pk_fma_f32 v[4:5], v[4:5], s[78:79], v[8:9]              // 00000000A078: D3B04004 1C209D04
	v_pk_fma_f32 v[6:7], v[6:7], s[78:79], v[8:9]              // 00000000A080: D3B04006 1C209D06
	v_pk_mul_f32 v[4:5], v[4:5], v[92:93]                      // 00000000A088: D3B14004 1802B904
	v_pk_mul_f32 v[6:7], v[6:7], v[94:95]                      // 00000000A090: D3B14006 1802BD06
	v_pk_mul_f32 v[4:5], v[4:5], s[60:61]                      // 00000000A098: D3B14004 18007904
	v_pk_mul_f32 v[6:7], v[6:7], s[60:61]                      // 00000000A0A0: D3B14006 18007906
	v_exp_f32_e32 v4, v4                                       // 00000000A0A8: 7E084104
	v_exp_f32_e32 v5, v5                                       // 00000000A0AC: 7E0A4105
	v_exp_f32_e32 v6, v6                                       // 00000000A0B0: 7E0C4106
	v_exp_f32_e32 v7, v7                                       // 00000000A0B4: 7E0E4107
	v_add_f32_e64 v4, v4, 1.0                                  // 00000000A0B8: D1010004 0001E504
	v_add_f32_e64 v5, v5, 1.0                                  // 00000000A0C0: D1010005 0001E505
	v_add_f32_e64 v6, v6, 1.0                                  // 00000000A0C8: D1010006 0001E506
	v_add_f32_e64 v7, v7, 1.0                                  // 00000000A0D0: D1010007 0001E507
	v_rcp_f32_e32 v4, v4                                       // 00000000A0D8: 7E084504
	v_rcp_f32_e32 v5, v5                                       // 00000000A0DC: 7E0A4505
	v_rcp_f32_e32 v6, v6                                       // 00000000A0E0: 7E0C4506
	v_rcp_f32_e32 v7, v7                                       // 00000000A0E4: 7E0E4507
	v_mul_f32_e32 v92, v92, v4                                 // 00000000A0E8: 0AB8095C
	v_mul_f32_e32 v93, v93, v5                                 // 00000000A0EC: 0ABA0B5D
	v_mul_f32_e32 v94, v94, v6                                 // 00000000A0F0: 0ABC0D5E
	v_mul_f32_e32 v95, v95, v7                                 // 00000000A0F4: 0ABE0F5F
	v_mul_f32_e32 v92, v92, v156                               // 00000000A0F8: 0AB9395C
	v_mul_f32_e32 v93, v93, v157                               // 00000000A0FC: 0ABB3B5D
	v_mul_f32_e32 v94, v94, v158                               // 00000000A100: 0ABD3D5E
	v_mul_f32_e32 v95, v95, v159                               // 00000000A104: 0ABF3F5F
	v_pk_mul_f32 v[4:5], v[96:97], v[96:97]                    // 00000000A108: D3B14004 1802C160
	v_pk_mul_f32 v[6:7], v[98:99], v[98:99]                    // 00000000A110: D3B14006 1802C562
	v_pk_fma_f32 v[4:5], v[4:5], s[78:79], v[8:9]              // 00000000A118: D3B04004 1C209D04
	v_pk_fma_f32 v[6:7], v[6:7], s[78:79], v[8:9]              // 00000000A120: D3B04006 1C209D06
	v_pk_mul_f32 v[4:5], v[4:5], v[96:97]                      // 00000000A128: D3B14004 1802C104
	v_pk_mul_f32 v[6:7], v[6:7], v[98:99]                      // 00000000A130: D3B14006 1802C506
	v_pk_mul_f32 v[4:5], v[4:5], s[60:61]                      // 00000000A138: D3B14004 18007904
	v_pk_mul_f32 v[6:7], v[6:7], s[60:61]                      // 00000000A140: D3B14006 18007906
	v_exp_f32_e32 v4, v4                                       // 00000000A148: 7E084104
	v_exp_f32_e32 v5, v5                                       // 00000000A14C: 7E0A4105
	v_exp_f32_e32 v6, v6                                       // 00000000A150: 7E0C4106
	v_exp_f32_e32 v7, v7                                       // 00000000A154: 7E0E4107
	v_add_f32_e64 v4, v4, 1.0                                  // 00000000A158: D1010004 0001E504
	v_add_f32_e64 v5, v5, 1.0                                  // 00000000A160: D1010005 0001E505
	v_add_f32_e64 v6, v6, 1.0                                  // 00000000A168: D1010006 0001E506
	v_add_f32_e64 v7, v7, 1.0                                  // 00000000A170: D1010007 0001E507
	v_rcp_f32_e32 v4, v4                                       // 00000000A178: 7E084504
	v_rcp_f32_e32 v5, v5                                       // 00000000A17C: 7E0A4505
	v_rcp_f32_e32 v6, v6                                       // 00000000A180: 7E0C4506
	v_rcp_f32_e32 v7, v7                                       // 00000000A184: 7E0E4507
	v_mul_f32_e32 v96, v96, v4                                 // 00000000A188: 0AC00960
	v_mul_f32_e32 v97, v97, v5                                 // 00000000A18C: 0AC20B61
	v_mul_f32_e32 v98, v98, v6                                 // 00000000A190: 0AC40D62
	v_mul_f32_e32 v99, v99, v7                                 // 00000000A194: 0AC60F63
	v_mul_f32_e32 v96, v96, v160                               // 00000000A198: 0AC14160
	v_mul_f32_e32 v97, v97, v161                               // 00000000A19C: 0AC34361
	v_mul_f32_e32 v98, v98, v162                               // 00000000A1A0: 0AC54562
	v_mul_f32_e32 v99, v99, v163                               // 00000000A1A4: 0AC74763
	v_pk_mul_f32 v[4:5], v[100:101], v[100:101]                // 00000000A1A8: D3B14004 1802C964
	v_pk_mul_f32 v[6:7], v[102:103], v[102:103]                // 00000000A1B0: D3B14006 1802CD66
	v_pk_fma_f32 v[4:5], v[4:5], s[78:79], v[8:9]              // 00000000A1B8: D3B04004 1C209D04
	v_pk_fma_f32 v[6:7], v[6:7], s[78:79], v[8:9]              // 00000000A1C0: D3B04006 1C209D06
	v_pk_mul_f32 v[4:5], v[4:5], v[100:101]                    // 00000000A1C8: D3B14004 1802C904
	v_pk_mul_f32 v[6:7], v[6:7], v[102:103]                    // 00000000A1D0: D3B14006 1802CD06
	v_pk_mul_f32 v[4:5], v[4:5], s[60:61]                      // 00000000A1D8: D3B14004 18007904
	v_pk_mul_f32 v[6:7], v[6:7], s[60:61]                      // 00000000A1E0: D3B14006 18007906
	v_exp_f32_e32 v4, v4                                       // 00000000A1E8: 7E084104
	v_exp_f32_e32 v5, v5                                       // 00000000A1EC: 7E0A4105
	v_exp_f32_e32 v6, v6                                       // 00000000A1F0: 7E0C4106
	v_exp_f32_e32 v7, v7                                       // 00000000A1F4: 7E0E4107
	v_add_f32_e64 v4, v4, 1.0                                  // 00000000A1F8: D1010004 0001E504
	v_add_f32_e64 v5, v5, 1.0                                  // 00000000A200: D1010005 0001E505
	v_add_f32_e64 v6, v6, 1.0                                  // 00000000A208: D1010006 0001E506
	v_add_f32_e64 v7, v7, 1.0                                  // 00000000A210: D1010007 0001E507
	v_rcp_f32_e32 v4, v4                                       // 00000000A218: 7E084504
	v_rcp_f32_e32 v5, v5                                       // 00000000A21C: 7E0A4505
	v_rcp_f32_e32 v6, v6                                       // 00000000A220: 7E0C4506
	v_rcp_f32_e32 v7, v7                                       // 00000000A224: 7E0E4507
	v_mul_f32_e32 v100, v100, v4                               // 00000000A228: 0AC80964
	v_mul_f32_e32 v101, v101, v5                               // 00000000A22C: 0ACA0B65
	v_mul_f32_e32 v102, v102, v6                               // 00000000A230: 0ACC0D66
	v_mul_f32_e32 v103, v103, v7                               // 00000000A234: 0ACE0F67
	v_mul_f32_e32 v100, v100, v164                             // 00000000A238: 0AC94964
	v_mul_f32_e32 v101, v101, v165                             // 00000000A23C: 0ACB4B65
	v_mul_f32_e32 v102, v102, v166                             // 00000000A240: 0ACD4D66
	v_mul_f32_e32 v103, v103, v167                             // 00000000A244: 0ACF4F67
	v_pk_mul_f32 v[4:5], v[104:105], v[104:105]                // 00000000A248: D3B14004 1802D168
	v_pk_mul_f32 v[6:7], v[106:107], v[106:107]                // 00000000A250: D3B14006 1802D56A
	v_pk_fma_f32 v[4:5], v[4:5], s[78:79], v[8:9]              // 00000000A258: D3B04004 1C209D04
	v_pk_fma_f32 v[6:7], v[6:7], s[78:79], v[8:9]              // 00000000A260: D3B04006 1C209D06
	v_pk_mul_f32 v[4:5], v[4:5], v[104:105]                    // 00000000A268: D3B14004 1802D104
	v_pk_mul_f32 v[6:7], v[6:7], v[106:107]                    // 00000000A270: D3B14006 1802D506
	v_pk_mul_f32 v[4:5], v[4:5], s[60:61]                      // 00000000A278: D3B14004 18007904
	v_pk_mul_f32 v[6:7], v[6:7], s[60:61]                      // 00000000A280: D3B14006 18007906
	v_exp_f32_e32 v4, v4                                       // 00000000A288: 7E084104
	v_exp_f32_e32 v5, v5                                       // 00000000A28C: 7E0A4105
	v_exp_f32_e32 v6, v6                                       // 00000000A290: 7E0C4106
	v_exp_f32_e32 v7, v7                                       // 00000000A294: 7E0E4107
	v_add_f32_e64 v4, v4, 1.0                                  // 00000000A298: D1010004 0001E504
	v_add_f32_e64 v5, v5, 1.0                                  // 00000000A2A0: D1010005 0001E505
	v_add_f32_e64 v6, v6, 1.0                                  // 00000000A2A8: D1010006 0001E506
	v_add_f32_e64 v7, v7, 1.0                                  // 00000000A2B0: D1010007 0001E507
	v_rcp_f32_e32 v4, v4                                       // 00000000A2B8: 7E084504
	v_rcp_f32_e32 v5, v5                                       // 00000000A2BC: 7E0A4505
	v_rcp_f32_e32 v6, v6                                       // 00000000A2C0: 7E0C4506
	v_rcp_f32_e32 v7, v7                                       // 00000000A2C4: 7E0E4507
	v_mul_f32_e32 v104, v104, v4                               // 00000000A2C8: 0AD00968
	v_mul_f32_e32 v105, v105, v5                               // 00000000A2CC: 0AD20B69
	v_mul_f32_e32 v106, v106, v6                               // 00000000A2D0: 0AD40D6A
	v_mul_f32_e32 v107, v107, v7                               // 00000000A2D4: 0AD60F6B
	v_mul_f32_e32 v104, v104, v168                             // 00000000A2D8: 0AD15168
	v_mul_f32_e32 v105, v105, v169                             // 00000000A2DC: 0AD35369
	v_mul_f32_e32 v106, v106, v170                             // 00000000A2E0: 0AD5556A
	v_mul_f32_e32 v107, v107, v171                             // 00000000A2E4: 0AD7576B
	v_pk_mul_f32 v[4:5], v[108:109], v[108:109]                // 00000000A2E8: D3B14004 1802D96C
	v_pk_mul_f32 v[6:7], v[110:111], v[110:111]                // 00000000A2F0: D3B14006 1802DD6E
	v_pk_fma_f32 v[4:5], v[4:5], s[78:79], v[8:9]              // 00000000A2F8: D3B04004 1C209D04
	v_pk_fma_f32 v[6:7], v[6:7], s[78:79], v[8:9]              // 00000000A300: D3B04006 1C209D06
	v_pk_mul_f32 v[4:5], v[4:5], v[108:109]                    // 00000000A308: D3B14004 1802D904
	v_pk_mul_f32 v[6:7], v[6:7], v[110:111]                    // 00000000A310: D3B14006 1802DD06
	v_pk_mul_f32 v[4:5], v[4:5], s[60:61]                      // 00000000A318: D3B14004 18007904
	v_pk_mul_f32 v[6:7], v[6:7], s[60:61]                      // 00000000A320: D3B14006 18007906
	v_exp_f32_e32 v4, v4                                       // 00000000A328: 7E084104
	v_exp_f32_e32 v5, v5                                       // 00000000A32C: 7E0A4105
	v_exp_f32_e32 v6, v6                                       // 00000000A330: 7E0C4106
	v_exp_f32_e32 v7, v7                                       // 00000000A334: 7E0E4107
	v_add_f32_e64 v4, v4, 1.0                                  // 00000000A338: D1010004 0001E504
	v_add_f32_e64 v5, v5, 1.0                                  // 00000000A340: D1010005 0001E505
	v_add_f32_e64 v6, v6, 1.0                                  // 00000000A348: D1010006 0001E506
	v_add_f32_e64 v7, v7, 1.0                                  // 00000000A350: D1010007 0001E507
	v_rcp_f32_e32 v4, v4                                       // 00000000A358: 7E084504
	v_rcp_f32_e32 v5, v5                                       // 00000000A35C: 7E0A4505
	v_rcp_f32_e32 v6, v6                                       // 00000000A360: 7E0C4506
	v_rcp_f32_e32 v7, v7                                       // 00000000A364: 7E0E4507
	v_mul_f32_e32 v108, v108, v4                               // 00000000A368: 0AD8096C
	v_mul_f32_e32 v109, v109, v5                               // 00000000A36C: 0ADA0B6D
	v_mul_f32_e32 v110, v110, v6                               // 00000000A370: 0ADC0D6E
	v_mul_f32_e32 v111, v111, v7                               // 00000000A374: 0ADE0F6F
	v_mul_f32_e32 v108, v108, v172                             // 00000000A378: 0AD9596C
	v_mul_f32_e32 v109, v109, v173                             // 00000000A37C: 0ADB5B6D
	v_mul_f32_e32 v110, v110, v174                             // 00000000A380: 0ADD5D6E
	v_mul_f32_e32 v111, v111, v175                             // 00000000A384: 0ADF5F6F
	v_pk_mul_f32 v[4:5], v[112:113], v[112:113]                // 00000000A388: D3B14004 1802E170
	v_pk_mul_f32 v[6:7], v[114:115], v[114:115]                // 00000000A390: D3B14006 1802E572
	v_pk_fma_f32 v[4:5], v[4:5], s[78:79], v[8:9]              // 00000000A398: D3B04004 1C209D04
	v_pk_fma_f32 v[6:7], v[6:7], s[78:79], v[8:9]              // 00000000A3A0: D3B04006 1C209D06
	v_pk_mul_f32 v[4:5], v[4:5], v[112:113]                    // 00000000A3A8: D3B14004 1802E104
	v_pk_mul_f32 v[6:7], v[6:7], v[114:115]                    // 00000000A3B0: D3B14006 1802E506
	v_pk_mul_f32 v[4:5], v[4:5], s[60:61]                      // 00000000A3B8: D3B14004 18007904
	v_pk_mul_f32 v[6:7], v[6:7], s[60:61]                      // 00000000A3C0: D3B14006 18007906
	v_exp_f32_e32 v4, v4                                       // 00000000A3C8: 7E084104
	v_exp_f32_e32 v5, v5                                       // 00000000A3CC: 7E0A4105
	v_exp_f32_e32 v6, v6                                       // 00000000A3D0: 7E0C4106
	v_exp_f32_e32 v7, v7                                       // 00000000A3D4: 7E0E4107
	v_add_f32_e64 v4, v4, 1.0                                  // 00000000A3D8: D1010004 0001E504
	v_add_f32_e64 v5, v5, 1.0                                  // 00000000A3E0: D1010005 0001E505
	v_add_f32_e64 v6, v6, 1.0                                  // 00000000A3E8: D1010006 0001E506
	v_add_f32_e64 v7, v7, 1.0                                  // 00000000A3F0: D1010007 0001E507
	v_rcp_f32_e32 v4, v4                                       // 00000000A3F8: 7E084504
	v_rcp_f32_e32 v5, v5                                       // 00000000A3FC: 7E0A4505
	v_rcp_f32_e32 v6, v6                                       // 00000000A400: 7E0C4506
	v_rcp_f32_e32 v7, v7                                       // 00000000A404: 7E0E4507
	v_mul_f32_e32 v112, v112, v4                               // 00000000A408: 0AE00970
	v_mul_f32_e32 v113, v113, v5                               // 00000000A40C: 0AE20B71
	v_mul_f32_e32 v114, v114, v6                               // 00000000A410: 0AE40D72
	v_mul_f32_e32 v115, v115, v7                               // 00000000A414: 0AE60F73
	v_mul_f32_e32 v112, v112, v176                             // 00000000A418: 0AE16170
	v_mul_f32_e32 v113, v113, v177                             // 00000000A41C: 0AE36371
	v_mul_f32_e32 v114, v114, v178                             // 00000000A420: 0AE56572
	v_mul_f32_e32 v115, v115, v179                             // 00000000A424: 0AE76773
	v_pk_mul_f32 v[4:5], v[116:117], v[116:117]                // 00000000A428: D3B14004 1802E974
	v_pk_mul_f32 v[6:7], v[118:119], v[118:119]                // 00000000A430: D3B14006 1802ED76
	v_pk_fma_f32 v[4:5], v[4:5], s[78:79], v[8:9]              // 00000000A438: D3B04004 1C209D04
	v_pk_fma_f32 v[6:7], v[6:7], s[78:79], v[8:9]              // 00000000A440: D3B04006 1C209D06
	v_pk_mul_f32 v[4:5], v[4:5], v[116:117]                    // 00000000A448: D3B14004 1802E904
	v_pk_mul_f32 v[6:7], v[6:7], v[118:119]                    // 00000000A450: D3B14006 1802ED06
	v_pk_mul_f32 v[4:5], v[4:5], s[60:61]                      // 00000000A458: D3B14004 18007904
	v_pk_mul_f32 v[6:7], v[6:7], s[60:61]                      // 00000000A460: D3B14006 18007906
	v_exp_f32_e32 v4, v4                                       // 00000000A468: 7E084104
	v_exp_f32_e32 v5, v5                                       // 00000000A46C: 7E0A4105
	v_exp_f32_e32 v6, v6                                       // 00000000A470: 7E0C4106
	v_exp_f32_e32 v7, v7                                       // 00000000A474: 7E0E4107
	v_add_f32_e64 v4, v4, 1.0                                  // 00000000A478: D1010004 0001E504
	v_add_f32_e64 v5, v5, 1.0                                  // 00000000A480: D1010005 0001E505
	v_add_f32_e64 v6, v6, 1.0                                  // 00000000A488: D1010006 0001E506
	v_add_f32_e64 v7, v7, 1.0                                  // 00000000A490: D1010007 0001E507
	v_rcp_f32_e32 v4, v4                                       // 00000000A498: 7E084504
	v_rcp_f32_e32 v5, v5                                       // 00000000A49C: 7E0A4505
	v_rcp_f32_e32 v6, v6                                       // 00000000A4A0: 7E0C4506
	v_rcp_f32_e32 v7, v7                                       // 00000000A4A4: 7E0E4507
	v_mul_f32_e32 v116, v116, v4                               // 00000000A4A8: 0AE80974
	v_mul_f32_e32 v117, v117, v5                               // 00000000A4AC: 0AEA0B75
	v_mul_f32_e32 v118, v118, v6                               // 00000000A4B0: 0AEC0D76
	v_mul_f32_e32 v119, v119, v7                               // 00000000A4B4: 0AEE0F77
	v_mul_f32_e32 v116, v116, v180                             // 00000000A4B8: 0AE96974
	v_mul_f32_e32 v117, v117, v181                             // 00000000A4BC: 0AEB6B75
	v_mul_f32_e32 v118, v118, v182                             // 00000000A4C0: 0AED6D76
	v_mul_f32_e32 v119, v119, v183                             // 00000000A4C4: 0AEF6F77
	s_branch label_20B6                                        // 00000000A4C8: BF820200

000000000000a4cc <label_1EB6>:
	v_mul_f32_e64 v4, -v56, s6                                 // 00000000A4CC: D1050004 20000D38
	v_mul_f32_e64 v5, -v57, s6                                 // 00000000A4D4: D1050005 20000D39
	v_mul_f32_e64 v6, -v58, s6                                 // 00000000A4DC: D1050006 20000D3A
	v_mul_f32_e64 v7, -v59, s6                                 // 00000000A4E4: D1050007 20000D3B
	v_exp_f32_e32 v4, v4                                       // 00000000A4EC: 7E084104
	v_exp_f32_e32 v5, v5                                       // 00000000A4F0: 7E0A4105
	v_exp_f32_e32 v6, v6                                       // 00000000A4F4: 7E0C4106
	v_exp_f32_e32 v7, v7                                       // 00000000A4F8: 7E0E4107
	v_add_f32_e64 v4, v4, 1.0                                  // 00000000A4FC: D1010004 0001E504
	v_add_f32_e64 v5, v5, 1.0                                  // 00000000A504: D1010005 0001E505
	v_add_f32_e64 v6, v6, 1.0                                  // 00000000A50C: D1010006 0001E506
	v_add_f32_e64 v7, v7, 1.0                                  // 00000000A514: D1010007 0001E507
	v_rcp_f32_e32 v4, v4                                       // 00000000A51C: 7E084504
	v_rcp_f32_e32 v5, v5                                       // 00000000A520: 7E0A4505
	v_rcp_f32_e32 v6, v6                                       // 00000000A524: 7E0C4506
	v_rcp_f32_e32 v7, v7                                       // 00000000A528: 7E0E4507
	v_mul_f32_e32 v56, v56, v4                                 // 00000000A52C: 0A700938
	v_mul_f32_e32 v57, v57, v5                                 // 00000000A530: 0A720B39
	v_mul_f32_e32 v58, v58, v6                                 // 00000000A534: 0A740D3A
	v_mul_f32_e32 v59, v59, v7                                 // 00000000A538: 0A760F3B
	v_mul_f32_e32 v56, v56, v120                               // 00000000A53C: 0A70F138
	v_mul_f32_e32 v57, v57, v121                               // 00000000A540: 0A72F339
	v_mul_f32_e32 v58, v58, v122                               // 00000000A544: 0A74F53A
	v_mul_f32_e32 v59, v59, v123                               // 00000000A548: 0A76F73B
	v_mul_f32_e64 v4, -v60, s6                                 // 00000000A54C: D1050004 20000D3C
	v_mul_f32_e64 v5, -v61, s6                                 // 00000000A554: D1050005 20000D3D
	v_mul_f32_e64 v6, -v62, s6                                 // 00000000A55C: D1050006 20000D3E
	v_mul_f32_e64 v7, -v63, s6                                 // 00000000A564: D1050007 20000D3F
	v_exp_f32_e32 v4, v4                                       // 00000000A56C: 7E084104
	v_exp_f32_e32 v5, v5                                       // 00000000A570: 7E0A4105
	v_exp_f32_e32 v6, v6                                       // 00000000A574: 7E0C4106
	v_exp_f32_e32 v7, v7                                       // 00000000A578: 7E0E4107
	v_add_f32_e64 v4, v4, 1.0                                  // 00000000A57C: D1010004 0001E504
	v_add_f32_e64 v5, v5, 1.0                                  // 00000000A584: D1010005 0001E505
	v_add_f32_e64 v6, v6, 1.0                                  // 00000000A58C: D1010006 0001E506
	v_add_f32_e64 v7, v7, 1.0                                  // 00000000A594: D1010007 0001E507
	v_rcp_f32_e32 v4, v4                                       // 00000000A59C: 7E084504
	v_rcp_f32_e32 v5, v5                                       // 00000000A5A0: 7E0A4505
	v_rcp_f32_e32 v6, v6                                       // 00000000A5A4: 7E0C4506
	v_rcp_f32_e32 v7, v7                                       // 00000000A5A8: 7E0E4507
	v_mul_f32_e32 v60, v60, v4                                 // 00000000A5AC: 0A78093C
	v_mul_f32_e32 v61, v61, v5                                 // 00000000A5B0: 0A7A0B3D
	v_mul_f32_e32 v62, v62, v6                                 // 00000000A5B4: 0A7C0D3E
	v_mul_f32_e32 v63, v63, v7                                 // 00000000A5B8: 0A7E0F3F
	v_mul_f32_e32 v60, v60, v124                               // 00000000A5BC: 0A78F93C
	v_mul_f32_e32 v61, v61, v125                               // 00000000A5C0: 0A7AFB3D
	v_mul_f32_e32 v62, v62, v126                               // 00000000A5C4: 0A7CFD3E
	v_mul_f32_e32 v63, v63, v127                               // 00000000A5C8: 0A7EFF3F
	v_mul_f32_e64 v4, -v64, s6                                 // 00000000A5CC: D1050004 20000D40
	v_mul_f32_e64 v5, -v65, s6                                 // 00000000A5D4: D1050005 20000D41
	v_mul_f32_e64 v6, -v66, s6                                 // 00000000A5DC: D1050006 20000D42
	v_mul_f32_e64 v7, -v67, s6                                 // 00000000A5E4: D1050007 20000D43
	v_exp_f32_e32 v4, v4                                       // 00000000A5EC: 7E084104
	v_exp_f32_e32 v5, v5                                       // 00000000A5F0: 7E0A4105
	v_exp_f32_e32 v6, v6                                       // 00000000A5F4: 7E0C4106
	v_exp_f32_e32 v7, v7                                       // 00000000A5F8: 7E0E4107
	v_add_f32_e64 v4, v4, 1.0                                  // 00000000A5FC: D1010004 0001E504
	v_add_f32_e64 v5, v5, 1.0                                  // 00000000A604: D1010005 0001E505
	v_add_f32_e64 v6, v6, 1.0                                  // 00000000A60C: D1010006 0001E506
	v_add_f32_e64 v7, v7, 1.0                                  // 00000000A614: D1010007 0001E507
	v_rcp_f32_e32 v4, v4                                       // 00000000A61C: 7E084504
	v_rcp_f32_e32 v5, v5                                       // 00000000A620: 7E0A4505
	v_rcp_f32_e32 v6, v6                                       // 00000000A624: 7E0C4506
	v_rcp_f32_e32 v7, v7                                       // 00000000A628: 7E0E4507
	v_mul_f32_e32 v64, v64, v4                                 // 00000000A62C: 0A800940
	v_mul_f32_e32 v65, v65, v5                                 // 00000000A630: 0A820B41
	v_mul_f32_e32 v66, v66, v6                                 // 00000000A634: 0A840D42
	v_mul_f32_e32 v67, v67, v7                                 // 00000000A638: 0A860F43
	v_mul_f32_e32 v64, v64, v128                               // 00000000A63C: 0A810140
	v_mul_f32_e32 v65, v65, v129                               // 00000000A640: 0A830341
	v_mul_f32_e32 v66, v66, v130                               // 00000000A644: 0A850542
	v_mul_f32_e32 v67, v67, v131                               // 00000000A648: 0A870743
	v_mul_f32_e64 v4, -v68, s6                                 // 00000000A64C: D1050004 20000D44
	v_mul_f32_e64 v5, -v69, s6                                 // 00000000A654: D1050005 20000D45
	v_mul_f32_e64 v6, -v70, s6                                 // 00000000A65C: D1050006 20000D46
	v_mul_f32_e64 v7, -v71, s6                                 // 00000000A664: D1050007 20000D47
	v_exp_f32_e32 v4, v4                                       // 00000000A66C: 7E084104
	v_exp_f32_e32 v5, v5                                       // 00000000A670: 7E0A4105
	v_exp_f32_e32 v6, v6                                       // 00000000A674: 7E0C4106
	v_exp_f32_e32 v7, v7                                       // 00000000A678: 7E0E4107
	v_add_f32_e64 v4, v4, 1.0                                  // 00000000A67C: D1010004 0001E504
	v_add_f32_e64 v5, v5, 1.0                                  // 00000000A684: D1010005 0001E505
	v_add_f32_e64 v6, v6, 1.0                                  // 00000000A68C: D1010006 0001E506
	v_add_f32_e64 v7, v7, 1.0                                  // 00000000A694: D1010007 0001E507
	v_rcp_f32_e32 v4, v4                                       // 00000000A69C: 7E084504
	v_rcp_f32_e32 v5, v5                                       // 00000000A6A0: 7E0A4505
	v_rcp_f32_e32 v6, v6                                       // 00000000A6A4: 7E0C4506
	v_rcp_f32_e32 v7, v7                                       // 00000000A6A8: 7E0E4507
	v_mul_f32_e32 v68, v68, v4                                 // 00000000A6AC: 0A880944
	v_mul_f32_e32 v69, v69, v5                                 // 00000000A6B0: 0A8A0B45
	v_mul_f32_e32 v70, v70, v6                                 // 00000000A6B4: 0A8C0D46
	v_mul_f32_e32 v71, v71, v7                                 // 00000000A6B8: 0A8E0F47
	v_mul_f32_e32 v68, v68, v132                               // 00000000A6BC: 0A890944
	v_mul_f32_e32 v69, v69, v133                               // 00000000A6C0: 0A8B0B45
	v_mul_f32_e32 v70, v70, v134                               // 00000000A6C4: 0A8D0D46
	v_mul_f32_e32 v71, v71, v135                               // 00000000A6C8: 0A8F0F47
	v_mul_f32_e64 v4, -v72, s6                                 // 00000000A6CC: D1050004 20000D48
	v_mul_f32_e64 v5, -v73, s6                                 // 00000000A6D4: D1050005 20000D49
	v_mul_f32_e64 v6, -v74, s6                                 // 00000000A6DC: D1050006 20000D4A
	v_mul_f32_e64 v7, -v75, s6                                 // 00000000A6E4: D1050007 20000D4B
	v_exp_f32_e32 v4, v4                                       // 00000000A6EC: 7E084104
	v_exp_f32_e32 v5, v5                                       // 00000000A6F0: 7E0A4105
	v_exp_f32_e32 v6, v6                                       // 00000000A6F4: 7E0C4106
	v_exp_f32_e32 v7, v7                                       // 00000000A6F8: 7E0E4107
	v_add_f32_e64 v4, v4, 1.0                                  // 00000000A6FC: D1010004 0001E504
	v_add_f32_e64 v5, v5, 1.0                                  // 00000000A704: D1010005 0001E505
	v_add_f32_e64 v6, v6, 1.0                                  // 00000000A70C: D1010006 0001E506
	v_add_f32_e64 v7, v7, 1.0                                  // 00000000A714: D1010007 0001E507
	v_rcp_f32_e32 v4, v4                                       // 00000000A71C: 7E084504
	v_rcp_f32_e32 v5, v5                                       // 00000000A720: 7E0A4505
	v_rcp_f32_e32 v6, v6                                       // 00000000A724: 7E0C4506
	v_rcp_f32_e32 v7, v7                                       // 00000000A728: 7E0E4507
	v_mul_f32_e32 v72, v72, v4                                 // 00000000A72C: 0A900948
	v_mul_f32_e32 v73, v73, v5                                 // 00000000A730: 0A920B49
	v_mul_f32_e32 v74, v74, v6                                 // 00000000A734: 0A940D4A
	v_mul_f32_e32 v75, v75, v7                                 // 00000000A738: 0A960F4B
	v_mul_f32_e32 v72, v72, v136                               // 00000000A73C: 0A911148
	v_mul_f32_e32 v73, v73, v137                               // 00000000A740: 0A931349
	v_mul_f32_e32 v74, v74, v138                               // 00000000A744: 0A95154A
	v_mul_f32_e32 v75, v75, v139                               // 00000000A748: 0A97174B
	v_mul_f32_e64 v4, -v76, s6                                 // 00000000A74C: D1050004 20000D4C
	v_mul_f32_e64 v5, -v77, s6                                 // 00000000A754: D1050005 20000D4D
	v_mul_f32_e64 v6, -v78, s6                                 // 00000000A75C: D1050006 20000D4E
	v_mul_f32_e64 v7, -v79, s6                                 // 00000000A764: D1050007 20000D4F
	v_exp_f32_e32 v4, v4                                       // 00000000A76C: 7E084104
	v_exp_f32_e32 v5, v5                                       // 00000000A770: 7E0A4105
	v_exp_f32_e32 v6, v6                                       // 00000000A774: 7E0C4106
	v_exp_f32_e32 v7, v7                                       // 00000000A778: 7E0E4107
	v_add_f32_e64 v4, v4, 1.0                                  // 00000000A77C: D1010004 0001E504
	v_add_f32_e64 v5, v5, 1.0                                  // 00000000A784: D1010005 0001E505
	v_add_f32_e64 v6, v6, 1.0                                  // 00000000A78C: D1010006 0001E506
	v_add_f32_e64 v7, v7, 1.0                                  // 00000000A794: D1010007 0001E507
	v_rcp_f32_e32 v4, v4                                       // 00000000A79C: 7E084504
	v_rcp_f32_e32 v5, v5                                       // 00000000A7A0: 7E0A4505
	v_rcp_f32_e32 v6, v6                                       // 00000000A7A4: 7E0C4506
	v_rcp_f32_e32 v7, v7                                       // 00000000A7A8: 7E0E4507
	v_mul_f32_e32 v76, v76, v4                                 // 00000000A7AC: 0A98094C
	v_mul_f32_e32 v77, v77, v5                                 // 00000000A7B0: 0A9A0B4D
	v_mul_f32_e32 v78, v78, v6                                 // 00000000A7B4: 0A9C0D4E
	v_mul_f32_e32 v79, v79, v7                                 // 00000000A7B8: 0A9E0F4F
	v_mul_f32_e32 v76, v76, v140                               // 00000000A7BC: 0A99194C
	v_mul_f32_e32 v77, v77, v141                               // 00000000A7C0: 0A9B1B4D
	v_mul_f32_e32 v78, v78, v142                               // 00000000A7C4: 0A9D1D4E
	v_mul_f32_e32 v79, v79, v143                               // 00000000A7C8: 0A9F1F4F
	v_mul_f32_e64 v4, -v80, s6                                 // 00000000A7CC: D1050004 20000D50
	v_mul_f32_e64 v5, -v81, s6                                 // 00000000A7D4: D1050005 20000D51
	v_mul_f32_e64 v6, -v82, s6                                 // 00000000A7DC: D1050006 20000D52
	v_mul_f32_e64 v7, -v83, s6                                 // 00000000A7E4: D1050007 20000D53
	v_exp_f32_e32 v4, v4                                       // 00000000A7EC: 7E084104
	v_exp_f32_e32 v5, v5                                       // 00000000A7F0: 7E0A4105
	v_exp_f32_e32 v6, v6                                       // 00000000A7F4: 7E0C4106
	v_exp_f32_e32 v7, v7                                       // 00000000A7F8: 7E0E4107
	v_add_f32_e64 v4, v4, 1.0                                  // 00000000A7FC: D1010004 0001E504
	v_add_f32_e64 v5, v5, 1.0                                  // 00000000A804: D1010005 0001E505
	v_add_f32_e64 v6, v6, 1.0                                  // 00000000A80C: D1010006 0001E506
	v_add_f32_e64 v7, v7, 1.0                                  // 00000000A814: D1010007 0001E507
	v_rcp_f32_e32 v4, v4                                       // 00000000A81C: 7E084504
	v_rcp_f32_e32 v5, v5                                       // 00000000A820: 7E0A4505
	v_rcp_f32_e32 v6, v6                                       // 00000000A824: 7E0C4506
	v_rcp_f32_e32 v7, v7                                       // 00000000A828: 7E0E4507
	v_mul_f32_e32 v80, v80, v4                                 // 00000000A82C: 0AA00950
	v_mul_f32_e32 v81, v81, v5                                 // 00000000A830: 0AA20B51
	v_mul_f32_e32 v82, v82, v6                                 // 00000000A834: 0AA40D52
	v_mul_f32_e32 v83, v83, v7                                 // 00000000A838: 0AA60F53
	v_mul_f32_e32 v80, v80, v144                               // 00000000A83C: 0AA12150
	v_mul_f32_e32 v81, v81, v145                               // 00000000A840: 0AA32351
	v_mul_f32_e32 v82, v82, v146                               // 00000000A844: 0AA52552
	v_mul_f32_e32 v83, v83, v147                               // 00000000A848: 0AA72753
	v_mul_f32_e64 v4, -v84, s6                                 // 00000000A84C: D1050004 20000D54
	v_mul_f32_e64 v5, -v85, s6                                 // 00000000A854: D1050005 20000D55
	v_mul_f32_e64 v6, -v86, s6                                 // 00000000A85C: D1050006 20000D56
	v_mul_f32_e64 v7, -v87, s6                                 // 00000000A864: D1050007 20000D57
	v_exp_f32_e32 v4, v4                                       // 00000000A86C: 7E084104
	v_exp_f32_e32 v5, v5                                       // 00000000A870: 7E0A4105
	v_exp_f32_e32 v6, v6                                       // 00000000A874: 7E0C4106
	v_exp_f32_e32 v7, v7                                       // 00000000A878: 7E0E4107
	v_add_f32_e64 v4, v4, 1.0                                  // 00000000A87C: D1010004 0001E504
	v_add_f32_e64 v5, v5, 1.0                                  // 00000000A884: D1010005 0001E505
	v_add_f32_e64 v6, v6, 1.0                                  // 00000000A88C: D1010006 0001E506
	v_add_f32_e64 v7, v7, 1.0                                  // 00000000A894: D1010007 0001E507
	v_rcp_f32_e32 v4, v4                                       // 00000000A89C: 7E084504
	v_rcp_f32_e32 v5, v5                                       // 00000000A8A0: 7E0A4505
	v_rcp_f32_e32 v6, v6                                       // 00000000A8A4: 7E0C4506
	v_rcp_f32_e32 v7, v7                                       // 00000000A8A8: 7E0E4507
	v_mul_f32_e32 v84, v84, v4                                 // 00000000A8AC: 0AA80954
	v_mul_f32_e32 v85, v85, v5                                 // 00000000A8B0: 0AAA0B55
	v_mul_f32_e32 v86, v86, v6                                 // 00000000A8B4: 0AAC0D56
	v_mul_f32_e32 v87, v87, v7                                 // 00000000A8B8: 0AAE0F57
	v_mul_f32_e32 v84, v84, v148                               // 00000000A8BC: 0AA92954
	v_mul_f32_e32 v85, v85, v149                               // 00000000A8C0: 0AAB2B55
	v_mul_f32_e32 v86, v86, v150                               // 00000000A8C4: 0AAD2D56
	v_mul_f32_e32 v87, v87, v151                               // 00000000A8C8: 0AAF2F57
	v_mul_f32_e64 v4, -v88, s6                                 // 00000000A8CC: D1050004 20000D58
	v_mul_f32_e64 v5, -v89, s6                                 // 00000000A8D4: D1050005 20000D59
	v_mul_f32_e64 v6, -v90, s6                                 // 00000000A8DC: D1050006 20000D5A
	v_mul_f32_e64 v7, -v91, s6                                 // 00000000A8E4: D1050007 20000D5B
	v_exp_f32_e32 v4, v4                                       // 00000000A8EC: 7E084104
	v_exp_f32_e32 v5, v5                                       // 00000000A8F0: 7E0A4105
	v_exp_f32_e32 v6, v6                                       // 00000000A8F4: 7E0C4106
	v_exp_f32_e32 v7, v7                                       // 00000000A8F8: 7E0E4107
	v_add_f32_e64 v4, v4, 1.0                                  // 00000000A8FC: D1010004 0001E504
	v_add_f32_e64 v5, v5, 1.0                                  // 00000000A904: D1010005 0001E505
	v_add_f32_e64 v6, v6, 1.0                                  // 00000000A90C: D1010006 0001E506
	v_add_f32_e64 v7, v7, 1.0                                  // 00000000A914: D1010007 0001E507
	v_rcp_f32_e32 v4, v4                                       // 00000000A91C: 7E084504
	v_rcp_f32_e32 v5, v5                                       // 00000000A920: 7E0A4505
	v_rcp_f32_e32 v6, v6                                       // 00000000A924: 7E0C4506
	v_rcp_f32_e32 v7, v7                                       // 00000000A928: 7E0E4507
	v_mul_f32_e32 v88, v88, v4                                 // 00000000A92C: 0AB00958
	v_mul_f32_e32 v89, v89, v5                                 // 00000000A930: 0AB20B59
	v_mul_f32_e32 v90, v90, v6                                 // 00000000A934: 0AB40D5A
	v_mul_f32_e32 v91, v91, v7                                 // 00000000A938: 0AB60F5B
	v_mul_f32_e32 v88, v88, v152                               // 00000000A93C: 0AB13158
	v_mul_f32_e32 v89, v89, v153                               // 00000000A940: 0AB33359
	v_mul_f32_e32 v90, v90, v154                               // 00000000A944: 0AB5355A
	v_mul_f32_e32 v91, v91, v155                               // 00000000A948: 0AB7375B
	v_mul_f32_e64 v4, -v92, s6                                 // 00000000A94C: D1050004 20000D5C
	v_mul_f32_e64 v5, -v93, s6                                 // 00000000A954: D1050005 20000D5D
	v_mul_f32_e64 v6, -v94, s6                                 // 00000000A95C: D1050006 20000D5E
	v_mul_f32_e64 v7, -v95, s6                                 // 00000000A964: D1050007 20000D5F
	v_exp_f32_e32 v4, v4                                       // 00000000A96C: 7E084104
	v_exp_f32_e32 v5, v5                                       // 00000000A970: 7E0A4105
	v_exp_f32_e32 v6, v6                                       // 00000000A974: 7E0C4106
	v_exp_f32_e32 v7, v7                                       // 00000000A978: 7E0E4107
	v_add_f32_e64 v4, v4, 1.0                                  // 00000000A97C: D1010004 0001E504
	v_add_f32_e64 v5, v5, 1.0                                  // 00000000A984: D1010005 0001E505
	v_add_f32_e64 v6, v6, 1.0                                  // 00000000A98C: D1010006 0001E506
	v_add_f32_e64 v7, v7, 1.0                                  // 00000000A994: D1010007 0001E507
	v_rcp_f32_e32 v4, v4                                       // 00000000A99C: 7E084504
	v_rcp_f32_e32 v5, v5                                       // 00000000A9A0: 7E0A4505
	v_rcp_f32_e32 v6, v6                                       // 00000000A9A4: 7E0C4506
	v_rcp_f32_e32 v7, v7                                       // 00000000A9A8: 7E0E4507
	v_mul_f32_e32 v92, v92, v4                                 // 00000000A9AC: 0AB8095C
	v_mul_f32_e32 v93, v93, v5                                 // 00000000A9B0: 0ABA0B5D
	v_mul_f32_e32 v94, v94, v6                                 // 00000000A9B4: 0ABC0D5E
	v_mul_f32_e32 v95, v95, v7                                 // 00000000A9B8: 0ABE0F5F
	v_mul_f32_e32 v92, v92, v156                               // 00000000A9BC: 0AB9395C
	v_mul_f32_e32 v93, v93, v157                               // 00000000A9C0: 0ABB3B5D
	v_mul_f32_e32 v94, v94, v158                               // 00000000A9C4: 0ABD3D5E
	v_mul_f32_e32 v95, v95, v159                               // 00000000A9C8: 0ABF3F5F
	v_mul_f32_e64 v4, -v96, s6                                 // 00000000A9CC: D1050004 20000D60
	v_mul_f32_e64 v5, -v97, s6                                 // 00000000A9D4: D1050005 20000D61
	v_mul_f32_e64 v6, -v98, s6                                 // 00000000A9DC: D1050006 20000D62
	v_mul_f32_e64 v7, -v99, s6                                 // 00000000A9E4: D1050007 20000D63
	v_exp_f32_e32 v4, v4                                       // 00000000A9EC: 7E084104
	v_exp_f32_e32 v5, v5                                       // 00000000A9F0: 7E0A4105
	v_exp_f32_e32 v6, v6                                       // 00000000A9F4: 7E0C4106
	v_exp_f32_e32 v7, v7                                       // 00000000A9F8: 7E0E4107
	v_add_f32_e64 v4, v4, 1.0                                  // 00000000A9FC: D1010004 0001E504
	v_add_f32_e64 v5, v5, 1.0                                  // 00000000AA04: D1010005 0001E505
	v_add_f32_e64 v6, v6, 1.0                                  // 00000000AA0C: D1010006 0001E506
	v_add_f32_e64 v7, v7, 1.0                                  // 00000000AA14: D1010007 0001E507
	v_rcp_f32_e32 v4, v4                                       // 00000000AA1C: 7E084504
	v_rcp_f32_e32 v5, v5                                       // 00000000AA20: 7E0A4505
	v_rcp_f32_e32 v6, v6                                       // 00000000AA24: 7E0C4506
	v_rcp_f32_e32 v7, v7                                       // 00000000AA28: 7E0E4507
	v_mul_f32_e32 v96, v96, v4                                 // 00000000AA2C: 0AC00960
	v_mul_f32_e32 v97, v97, v5                                 // 00000000AA30: 0AC20B61
	v_mul_f32_e32 v98, v98, v6                                 // 00000000AA34: 0AC40D62
	v_mul_f32_e32 v99, v99, v7                                 // 00000000AA38: 0AC60F63
	v_mul_f32_e32 v96, v96, v160                               // 00000000AA3C: 0AC14160
	v_mul_f32_e32 v97, v97, v161                               // 00000000AA40: 0AC34361
	v_mul_f32_e32 v98, v98, v162                               // 00000000AA44: 0AC54562
	v_mul_f32_e32 v99, v99, v163                               // 00000000AA48: 0AC74763
	v_mul_f32_e64 v4, -v100, s6                                // 00000000AA4C: D1050004 20000D64
	v_mul_f32_e64 v5, -v101, s6                                // 00000000AA54: D1050005 20000D65
	v_mul_f32_e64 v6, -v102, s6                                // 00000000AA5C: D1050006 20000D66
	v_mul_f32_e64 v7, -v103, s6                                // 00000000AA64: D1050007 20000D67
	v_exp_f32_e32 v4, v4                                       // 00000000AA6C: 7E084104
	v_exp_f32_e32 v5, v5                                       // 00000000AA70: 7E0A4105
	v_exp_f32_e32 v6, v6                                       // 00000000AA74: 7E0C4106
	v_exp_f32_e32 v7, v7                                       // 00000000AA78: 7E0E4107
	v_add_f32_e64 v4, v4, 1.0                                  // 00000000AA7C: D1010004 0001E504
	v_add_f32_e64 v5, v5, 1.0                                  // 00000000AA84: D1010005 0001E505
	v_add_f32_e64 v6, v6, 1.0                                  // 00000000AA8C: D1010006 0001E506
	v_add_f32_e64 v7, v7, 1.0                                  // 00000000AA94: D1010007 0001E507
	v_rcp_f32_e32 v4, v4                                       // 00000000AA9C: 7E084504
	v_rcp_f32_e32 v5, v5                                       // 00000000AAA0: 7E0A4505
	v_rcp_f32_e32 v6, v6                                       // 00000000AAA4: 7E0C4506
	v_rcp_f32_e32 v7, v7                                       // 00000000AAA8: 7E0E4507
	v_mul_f32_e32 v100, v100, v4                               // 00000000AAAC: 0AC80964
	v_mul_f32_e32 v101, v101, v5                               // 00000000AAB0: 0ACA0B65
	v_mul_f32_e32 v102, v102, v6                               // 00000000AAB4: 0ACC0D66
	v_mul_f32_e32 v103, v103, v7                               // 00000000AAB8: 0ACE0F67
	v_mul_f32_e32 v100, v100, v164                             // 00000000AABC: 0AC94964
	v_mul_f32_e32 v101, v101, v165                             // 00000000AAC0: 0ACB4B65
	v_mul_f32_e32 v102, v102, v166                             // 00000000AAC4: 0ACD4D66
	v_mul_f32_e32 v103, v103, v167                             // 00000000AAC8: 0ACF4F67
	v_mul_f32_e64 v4, -v104, s6                                // 00000000AACC: D1050004 20000D68
	v_mul_f32_e64 v5, -v105, s6                                // 00000000AAD4: D1050005 20000D69
	v_mul_f32_e64 v6, -v106, s6                                // 00000000AADC: D1050006 20000D6A
	v_mul_f32_e64 v7, -v107, s6                                // 00000000AAE4: D1050007 20000D6B
	v_exp_f32_e32 v4, v4                                       // 00000000AAEC: 7E084104
	v_exp_f32_e32 v5, v5                                       // 00000000AAF0: 7E0A4105
	v_exp_f32_e32 v6, v6                                       // 00000000AAF4: 7E0C4106
	v_exp_f32_e32 v7, v7                                       // 00000000AAF8: 7E0E4107
	v_add_f32_e64 v4, v4, 1.0                                  // 00000000AAFC: D1010004 0001E504
	v_add_f32_e64 v5, v5, 1.0                                  // 00000000AB04: D1010005 0001E505
	v_add_f32_e64 v6, v6, 1.0                                  // 00000000AB0C: D1010006 0001E506
	v_add_f32_e64 v7, v7, 1.0                                  // 00000000AB14: D1010007 0001E507
	v_rcp_f32_e32 v4, v4                                       // 00000000AB1C: 7E084504
	v_rcp_f32_e32 v5, v5                                       // 00000000AB20: 7E0A4505
	v_rcp_f32_e32 v6, v6                                       // 00000000AB24: 7E0C4506
	v_rcp_f32_e32 v7, v7                                       // 00000000AB28: 7E0E4507
	v_mul_f32_e32 v104, v104, v4                               // 00000000AB2C: 0AD00968
	v_mul_f32_e32 v105, v105, v5                               // 00000000AB30: 0AD20B69
	v_mul_f32_e32 v106, v106, v6                               // 00000000AB34: 0AD40D6A
	v_mul_f32_e32 v107, v107, v7                               // 00000000AB38: 0AD60F6B
	v_mul_f32_e32 v104, v104, v168                             // 00000000AB3C: 0AD15168
	v_mul_f32_e32 v105, v105, v169                             // 00000000AB40: 0AD35369
	v_mul_f32_e32 v106, v106, v170                             // 00000000AB44: 0AD5556A
	v_mul_f32_e32 v107, v107, v171                             // 00000000AB48: 0AD7576B
	v_mul_f32_e64 v4, -v108, s6                                // 00000000AB4C: D1050004 20000D6C
	v_mul_f32_e64 v5, -v109, s6                                // 00000000AB54: D1050005 20000D6D
	v_mul_f32_e64 v6, -v110, s6                                // 00000000AB5C: D1050006 20000D6E
	v_mul_f32_e64 v7, -v111, s6                                // 00000000AB64: D1050007 20000D6F
	v_exp_f32_e32 v4, v4                                       // 00000000AB6C: 7E084104
	v_exp_f32_e32 v5, v5                                       // 00000000AB70: 7E0A4105
	v_exp_f32_e32 v6, v6                                       // 00000000AB74: 7E0C4106
	v_exp_f32_e32 v7, v7                                       // 00000000AB78: 7E0E4107
	v_add_f32_e64 v4, v4, 1.0                                  // 00000000AB7C: D1010004 0001E504
	v_add_f32_e64 v5, v5, 1.0                                  // 00000000AB84: D1010005 0001E505
	v_add_f32_e64 v6, v6, 1.0                                  // 00000000AB8C: D1010006 0001E506
	v_add_f32_e64 v7, v7, 1.0                                  // 00000000AB94: D1010007 0001E507
	v_rcp_f32_e32 v4, v4                                       // 00000000AB9C: 7E084504
	v_rcp_f32_e32 v5, v5                                       // 00000000ABA0: 7E0A4505
	v_rcp_f32_e32 v6, v6                                       // 00000000ABA4: 7E0C4506
	v_rcp_f32_e32 v7, v7                                       // 00000000ABA8: 7E0E4507
	v_mul_f32_e32 v108, v108, v4                               // 00000000ABAC: 0AD8096C
	v_mul_f32_e32 v109, v109, v5                               // 00000000ABB0: 0ADA0B6D
	v_mul_f32_e32 v110, v110, v6                               // 00000000ABB4: 0ADC0D6E
	v_mul_f32_e32 v111, v111, v7                               // 00000000ABB8: 0ADE0F6F
	v_mul_f32_e32 v108, v108, v172                             // 00000000ABBC: 0AD9596C
	v_mul_f32_e32 v109, v109, v173                             // 00000000ABC0: 0ADB5B6D
	v_mul_f32_e32 v110, v110, v174                             // 00000000ABC4: 0ADD5D6E
	v_mul_f32_e32 v111, v111, v175                             // 00000000ABC8: 0ADF5F6F
	v_mul_f32_e64 v4, -v112, s6                                // 00000000ABCC: D1050004 20000D70
	v_mul_f32_e64 v5, -v113, s6                                // 00000000ABD4: D1050005 20000D71
	v_mul_f32_e64 v6, -v114, s6                                // 00000000ABDC: D1050006 20000D72
	v_mul_f32_e64 v7, -v115, s6                                // 00000000ABE4: D1050007 20000D73
	v_exp_f32_e32 v4, v4                                       // 00000000ABEC: 7E084104
	v_exp_f32_e32 v5, v5                                       // 00000000ABF0: 7E0A4105
	v_exp_f32_e32 v6, v6                                       // 00000000ABF4: 7E0C4106
	v_exp_f32_e32 v7, v7                                       // 00000000ABF8: 7E0E4107
	v_add_f32_e64 v4, v4, 1.0                                  // 00000000ABFC: D1010004 0001E504
	v_add_f32_e64 v5, v5, 1.0                                  // 00000000AC04: D1010005 0001E505
	v_add_f32_e64 v6, v6, 1.0                                  // 00000000AC0C: D1010006 0001E506
	v_add_f32_e64 v7, v7, 1.0                                  // 00000000AC14: D1010007 0001E507
	v_rcp_f32_e32 v4, v4                                       // 00000000AC1C: 7E084504
	v_rcp_f32_e32 v5, v5                                       // 00000000AC20: 7E0A4505
	v_rcp_f32_e32 v6, v6                                       // 00000000AC24: 7E0C4506
	v_rcp_f32_e32 v7, v7                                       // 00000000AC28: 7E0E4507
	v_mul_f32_e32 v112, v112, v4                               // 00000000AC2C: 0AE00970
	v_mul_f32_e32 v113, v113, v5                               // 00000000AC30: 0AE20B71
	v_mul_f32_e32 v114, v114, v6                               // 00000000AC34: 0AE40D72
	v_mul_f32_e32 v115, v115, v7                               // 00000000AC38: 0AE60F73
	v_mul_f32_e32 v112, v112, v176                             // 00000000AC3C: 0AE16170
	v_mul_f32_e32 v113, v113, v177                             // 00000000AC40: 0AE36371
	v_mul_f32_e32 v114, v114, v178                             // 00000000AC44: 0AE56572
	v_mul_f32_e32 v115, v115, v179                             // 00000000AC48: 0AE76773
	v_mul_f32_e64 v4, -v116, s6                                // 00000000AC4C: D1050004 20000D74
	v_mul_f32_e64 v5, -v117, s6                                // 00000000AC54: D1050005 20000D75
	v_mul_f32_e64 v6, -v118, s6                                // 00000000AC5C: D1050006 20000D76
	v_mul_f32_e64 v7, -v119, s6                                // 00000000AC64: D1050007 20000D77
	v_exp_f32_e32 v4, v4                                       // 00000000AC6C: 7E084104
	v_exp_f32_e32 v5, v5                                       // 00000000AC70: 7E0A4105
	v_exp_f32_e32 v6, v6                                       // 00000000AC74: 7E0C4106
	v_exp_f32_e32 v7, v7                                       // 00000000AC78: 7E0E4107
	v_add_f32_e64 v4, v4, 1.0                                  // 00000000AC7C: D1010004 0001E504
	v_add_f32_e64 v5, v5, 1.0                                  // 00000000AC84: D1010005 0001E505
	v_add_f32_e64 v6, v6, 1.0                                  // 00000000AC8C: D1010006 0001E506
	v_add_f32_e64 v7, v7, 1.0                                  // 00000000AC94: D1010007 0001E507
	v_rcp_f32_e32 v4, v4                                       // 00000000AC9C: 7E084504
	v_rcp_f32_e32 v5, v5                                       // 00000000ACA0: 7E0A4505
	v_rcp_f32_e32 v6, v6                                       // 00000000ACA4: 7E0C4506
	v_rcp_f32_e32 v7, v7                                       // 00000000ACA8: 7E0E4507
	v_mul_f32_e32 v116, v116, v4                               // 00000000ACAC: 0AE80974
	v_mul_f32_e32 v117, v117, v5                               // 00000000ACB0: 0AEA0B75
	v_mul_f32_e32 v118, v118, v6                               // 00000000ACB4: 0AEC0D76
	v_mul_f32_e32 v119, v119, v7                               // 00000000ACB8: 0AEE0F77
	v_mul_f32_e32 v116, v116, v180                             // 00000000ACBC: 0AE96974
	v_mul_f32_e32 v117, v117, v181                             // 00000000ACC0: 0AEB6B75
	v_mul_f32_e32 v118, v118, v182                             // 00000000ACC4: 0AED6D76
	v_mul_f32_e32 v119, v119, v183                             // 00000000ACC8: 0AEF6F77

000000000000accc <label_20B6>:
	s_cmp_eq_u32 s7, 0                                         // 00000000ACCC: BF068007
	s_cbranch_scc0 label_20C6                                  // 00000000ACD0: BF84000E
	v_and_b32_e32 v4, 15, v0                                   // 00000000ACD4: 2608008F
	v_lshlrev_b32_e32 v4, 2, v4                                // 00000000ACD8: 24080882
	buffer_load_dword v28, v4, s[12:15], 0 offen               // 00000000ACDC: E0501000 80031C04
	v_add_u32_e32 v4, 64, v4                                   // 00000000ACE4: 680808C0
	buffer_load_dword v29, v4, s[12:15], 0 offen               // 00000000ACE8: E0501000 80031D04
	v_add_u32_e32 v4, 64, v4                                   // 00000000ACF0: 680808C0
	buffer_load_dword v30, v4, s[12:15], 0 offen               // 00000000ACF4: E0501000 80031E04
	v_add_u32_e32 v4, 64, v4                                   // 00000000ACFC: 680808C0
	buffer_load_dword v31, v4, s[12:15], 0 offen               // 00000000AD00: E0501000 80031F04
	v_add_u32_e32 v4, 64, v4                                   // 00000000AD08: 680808C0

000000000000ad0c <label_20C6>:
	v_lshlrev_b32_e32 v4, 2, v0                                // 00000000AD0C: 24080082
	s_mul_i32 s60, 0x100, s7                                   // 00000000AD10: 923C07FF 00000100
	v_add_u32_e32 v128, s60, v4                                // 00000000AD18: 6900083C
	v_and_b32_e32 v4, 15, v0                                   // 00000000AD1C: 2608008F
	v_lshlrev_b32_e32 v129, 2, v4                              // 00000000AD20: 25020882
	s_waitcnt lgkmcnt(0)                                       // 00000000AD24: BF8CC07F
	s_barrier                                                  // 00000000AD28: BF8A0000
	v_mov_b32_e32 v120, 0x358637bd                             // 00000000AD2C: 7EF002FF 358637BD
	v_max3_f32 v120, |v56|, |v57|, v120                        // 00000000AD34: D1D30378 05E27338
	v_max3_f32 v120, |v58|, |v59|, v120                        // 00000000AD3C: D1D30378 05E2773A
	v_max3_f32 v120, |v72|, |v73|, v120                        // 00000000AD44: D1D30378 05E29348
	v_max3_f32 v120, |v74|, |v75|, v120                        // 00000000AD4C: D1D30378 05E2974A
	ds_write_b32 v128, v120                                    // 00000000AD54: D81A0000 00007880
	s_waitcnt lgkmcnt(0)                                       // 00000000AD5C: BF8CC07F
	s_barrier                                                  // 00000000AD60: BF8A0000
	ds_read_b32 v4, v129                                       // 00000000AD64: D86C0000 04000081
	ds_read_b32 v5, v129 offset:64                             // 00000000AD6C: D86C0040 05000081
	ds_read_b32 v6, v129 offset:128                            // 00000000AD74: D86C0080 06000081
	ds_read_b32 v7, v129 offset:192                            // 00000000AD7C: D86C00C0 07000081
	ds_read_b32 v8, v129 offset:256                            // 00000000AD84: D86C0100 08000081
	ds_read_b32 v9, v129 offset:320                            // 00000000AD8C: D86C0140 09000081
	ds_read_b32 v10, v129 offset:384                           // 00000000AD94: D86C0180 0A000081
	ds_read_b32 v11, v129 offset:448                           // 00000000AD9C: D86C01C0 0B000081
	ds_read_b32 v12, v129 offset:512                           // 00000000ADA4: D86C0200 0C000081
	ds_read_b32 v13, v129 offset:576                           // 00000000ADAC: D86C0240 0D000081
	ds_read_b32 v14, v129 offset:640                           // 00000000ADB4: D86C0280 0E000081
	ds_read_b32 v15, v129 offset:704                           // 00000000ADBC: D86C02C0 0F000081
	ds_read_b32 v16, v129 offset:768                           // 00000000ADC4: D86C0300 10000081
	ds_read_b32 v17, v129 offset:832                           // 00000000ADCC: D86C0340 11000081
	ds_read_b32 v18, v129 offset:896                           // 00000000ADD4: D86C0380 12000081
	ds_read_b32 v19, v129 offset:960                           // 00000000ADDC: D86C03C0 13000081
	s_waitcnt lgkmcnt(0)                                       // 00000000ADE4: BF8CC07F
	s_barrier                                                  // 00000000ADE8: BF8A0000
	v_max3_f32 v120, |v4|, |v5|, v120                          // 00000000ADEC: D1D30378 05E20B04
	v_max3_f32 v120, |v6|, |v7|, v120                          // 00000000ADF4: D1D30378 05E20F06
	v_max3_f32 v120, |v8|, |v9|, v120                          // 00000000ADFC: D1D30378 05E21308
	v_max3_f32 v120, |v10|, |v11|, v120                        // 00000000AE04: D1D30378 05E2170A
	v_max3_f32 v120, |v12|, |v13|, v120                        // 00000000AE0C: D1D30378 05E21B0C
	v_max3_f32 v120, |v14|, |v15|, v120                        // 00000000AE14: D1D30378 05E21F0E
	v_max3_f32 v120, |v16|, |v17|, v120                        // 00000000AE1C: D1D30378 05E22310
	v_max3_f32 v120, |v18|, |v19|, v120                        // 00000000AE24: D1D30378 05E22712
	v_rcp_f32_e32 v120, v120                                   // 00000000AE2C: 7EF04578
	v_mov_b32_e32 v4, 0x43700000                               // 00000000AE30: 7E0802FF 43700000
	v_mul_f32_e32 v120, v4, v120                               // 00000000AE38: 0AF0F104
	v_mov_b32_e32 v4, v120                                     // 00000000AE3C: 7E080378
	v_mov_b32_e32 v5, v4                                       // 00000000AE40: 7E0A0304
	v_pk_mul_f32 v[56:57], v[4:5], v[56:57]                    // 00000000AE44: D3B14038 18027104
	v_pk_mul_f32 v[58:59], v[4:5], v[58:59]                    // 00000000AE4C: D3B1403A 18027504
	v_cvt_pk_fp8_f32 v56, v56, v57                             // 00000000AE54: D2A20038 00027338
	v_cvt_pk_fp8_f32 v56, v58, v59 op_sel:[0,0,1]              // 00000000AE5C: D2A24038 0002773A
	v_pk_mul_f32 v[72:73], v[4:5], v[72:73]                    // 00000000AE64: D3B14048 18029104
	v_pk_mul_f32 v[74:75], v[4:5], v[74:75]                    // 00000000AE6C: D3B1404A 18029504
	v_cvt_pk_fp8_f32 v72, v72, v73                             // 00000000AE74: D2A20048 00029348
	v_cvt_pk_fp8_f32 v72, v74, v75 op_sel:[0,0,1]              // 00000000AE7C: D2A24048 0002974A
	v_rcp_f32_e32 v120, v120                                   // 00000000AE84: 7EF04578
	v_mov_b32_e32 v124, 0x358637bd                             // 00000000AE88: 7EF802FF 358637BD
	v_max3_f32 v124, |v88|, |v89|, v124                        // 00000000AE90: D1D3037C 05F2B358
	v_max3_f32 v124, |v90|, |v91|, v124                        // 00000000AE98: D1D3037C 05F2B75A
	v_max3_f32 v124, |v104|, |v105|, v124                      // 00000000AEA0: D1D3037C 05F2D368
	v_max3_f32 v124, |v106|, |v107|, v124                      // 00000000AEA8: D1D3037C 05F2D76A
	ds_write_b32 v128, v124                                    // 00000000AEB0: D81A0000 00007C80
	s_waitcnt lgkmcnt(0)                                       // 00000000AEB8: BF8CC07F
	s_barrier                                                  // 00000000AEBC: BF8A0000
	ds_read_b32 v4, v129                                       // 00000000AEC0: D86C0000 04000081
	ds_read_b32 v5, v129 offset:64                             // 00000000AEC8: D86C0040 05000081
	ds_read_b32 v6, v129 offset:128                            // 00000000AED0: D86C0080 06000081
	ds_read_b32 v7, v129 offset:192                            // 00000000AED8: D86C00C0 07000081
	ds_read_b32 v8, v129 offset:256                            // 00000000AEE0: D86C0100 08000081
	ds_read_b32 v9, v129 offset:320                            // 00000000AEE8: D86C0140 09000081
	ds_read_b32 v10, v129 offset:384                           // 00000000AEF0: D86C0180 0A000081
	ds_read_b32 v11, v129 offset:448                           // 00000000AEF8: D86C01C0 0B000081
	ds_read_b32 v12, v129 offset:512                           // 00000000AF00: D86C0200 0C000081
	ds_read_b32 v13, v129 offset:576                           // 00000000AF08: D86C0240 0D000081
	ds_read_b32 v14, v129 offset:640                           // 00000000AF10: D86C0280 0E000081
	ds_read_b32 v15, v129 offset:704                           // 00000000AF18: D86C02C0 0F000081
	ds_read_b32 v16, v129 offset:768                           // 00000000AF20: D86C0300 10000081
	ds_read_b32 v17, v129 offset:832                           // 00000000AF28: D86C0340 11000081
	ds_read_b32 v18, v129 offset:896                           // 00000000AF30: D86C0380 12000081
	ds_read_b32 v19, v129 offset:960                           // 00000000AF38: D86C03C0 13000081
	s_waitcnt lgkmcnt(0)                                       // 00000000AF40: BF8CC07F
	s_barrier                                                  // 00000000AF44: BF8A0000
	v_max3_f32 v124, |v4|, |v5|, v124                          // 00000000AF48: D1D3037C 05F20B04
	v_max3_f32 v124, |v6|, |v7|, v124                          // 00000000AF50: D1D3037C 05F20F06
	v_max3_f32 v124, |v8|, |v9|, v124                          // 00000000AF58: D1D3037C 05F21308
	v_max3_f32 v124, |v10|, |v11|, v124                        // 00000000AF60: D1D3037C 05F2170A
	v_max3_f32 v124, |v12|, |v13|, v124                        // 00000000AF68: D1D3037C 05F21B0C
	v_max3_f32 v124, |v14|, |v15|, v124                        // 00000000AF70: D1D3037C 05F21F0E
	v_max3_f32 v124, |v16|, |v17|, v124                        // 00000000AF78: D1D3037C 05F22310
	v_max3_f32 v124, |v18|, |v19|, v124                        // 00000000AF80: D1D3037C 05F22712
	v_rcp_f32_e32 v124, v124                                   // 00000000AF88: 7EF8457C
	v_mov_b32_e32 v4, 0x43700000                               // 00000000AF8C: 7E0802FF 43700000
	v_mul_f32_e32 v124, v4, v124                               // 00000000AF94: 0AF8F904
	v_mov_b32_e32 v4, v124                                     // 00000000AF98: 7E08037C
	v_mov_b32_e32 v5, v4                                       // 00000000AF9C: 7E0A0304
	v_pk_mul_f32 v[88:89], v[4:5], v[88:89]                    // 00000000AFA0: D3B14058 1802B104
	v_pk_mul_f32 v[90:91], v[4:5], v[90:91]                    // 00000000AFA8: D3B1405A 1802B504
	v_cvt_pk_fp8_f32 v88, v88, v89                             // 00000000AFB0: D2A20058 0002B358
	v_cvt_pk_fp8_f32 v88, v90, v91 op_sel:[0,0,1]              // 00000000AFB8: D2A24058 0002B75A
	v_pk_mul_f32 v[104:105], v[4:5], v[104:105]                // 00000000AFC0: D3B14068 1802D104
	v_pk_mul_f32 v[106:107], v[4:5], v[106:107]                // 00000000AFC8: D3B1406A 1802D504
	v_cvt_pk_fp8_f32 v104, v104, v105                          // 00000000AFD0: D2A20068 0002D368
	v_cvt_pk_fp8_f32 v104, v106, v107 op_sel:[0,0,1]           // 00000000AFD8: D2A24068 0002D76A
	v_rcp_f32_e32 v124, v124                                   // 00000000AFE0: 7EF8457C
	v_mov_b32_e32 v121, 0x358637bd                             // 00000000AFE4: 7EF202FF 358637BD
	v_max3_f32 v121, |v60|, |v61|, v121                        // 00000000AFEC: D1D30379 05E67B3C
	v_max3_f32 v121, |v62|, |v63|, v121                        // 00000000AFF4: D1D30379 05E67F3E
	v_max3_f32 v121, |v76|, |v77|, v121                        // 00000000AFFC: D1D30379 05E69B4C
	v_max3_f32 v121, |v78|, |v79|, v121                        // 00000000B004: D1D30379 05E69F4E
	ds_write_b32 v128, v121                                    // 00000000B00C: D81A0000 00007980
	s_waitcnt lgkmcnt(0)                                       // 00000000B014: BF8CC07F
	s_barrier                                                  // 00000000B018: BF8A0000
	ds_read_b32 v4, v129                                       // 00000000B01C: D86C0000 04000081
	ds_read_b32 v5, v129 offset:64                             // 00000000B024: D86C0040 05000081
	ds_read_b32 v6, v129 offset:128                            // 00000000B02C: D86C0080 06000081
	ds_read_b32 v7, v129 offset:192                            // 00000000B034: D86C00C0 07000081
	ds_read_b32 v8, v129 offset:256                            // 00000000B03C: D86C0100 08000081
	ds_read_b32 v9, v129 offset:320                            // 00000000B044: D86C0140 09000081
	ds_read_b32 v10, v129 offset:384                           // 00000000B04C: D86C0180 0A000081
	ds_read_b32 v11, v129 offset:448                           // 00000000B054: D86C01C0 0B000081
	ds_read_b32 v12, v129 offset:512                           // 00000000B05C: D86C0200 0C000081
	ds_read_b32 v13, v129 offset:576                           // 00000000B064: D86C0240 0D000081
	ds_read_b32 v14, v129 offset:640                           // 00000000B06C: D86C0280 0E000081
	ds_read_b32 v15, v129 offset:704                           // 00000000B074: D86C02C0 0F000081
	ds_read_b32 v16, v129 offset:768                           // 00000000B07C: D86C0300 10000081
	ds_read_b32 v17, v129 offset:832                           // 00000000B084: D86C0340 11000081
	ds_read_b32 v18, v129 offset:896                           // 00000000B08C: D86C0380 12000081
	ds_read_b32 v19, v129 offset:960                           // 00000000B094: D86C03C0 13000081
	s_waitcnt lgkmcnt(0)                                       // 00000000B09C: BF8CC07F
	s_barrier                                                  // 00000000B0A0: BF8A0000
	v_max3_f32 v121, |v4|, |v5|, v121                          // 00000000B0A4: D1D30379 05E60B04
	v_max3_f32 v121, |v6|, |v7|, v121                          // 00000000B0AC: D1D30379 05E60F06
	v_max3_f32 v121, |v8|, |v9|, v121                          // 00000000B0B4: D1D30379 05E61308
	v_max3_f32 v121, |v10|, |v11|, v121                        // 00000000B0BC: D1D30379 05E6170A
	v_max3_f32 v121, |v12|, |v13|, v121                        // 00000000B0C4: D1D30379 05E61B0C
	v_max3_f32 v121, |v14|, |v15|, v121                        // 00000000B0CC: D1D30379 05E61F0E
	v_max3_f32 v121, |v16|, |v17|, v121                        // 00000000B0D4: D1D30379 05E62310
	v_max3_f32 v121, |v18|, |v19|, v121                        // 00000000B0DC: D1D30379 05E62712
	v_rcp_f32_e32 v121, v121                                   // 00000000B0E4: 7EF24579
	v_mov_b32_e32 v4, 0x43700000                               // 00000000B0E8: 7E0802FF 43700000
	v_mul_f32_e32 v121, v4, v121                               // 00000000B0F0: 0AF2F304
	v_mov_b32_e32 v4, v121                                     // 00000000B0F4: 7E080379
	v_mov_b32_e32 v5, v4                                       // 00000000B0F8: 7E0A0304
	v_pk_mul_f32 v[60:61], v[4:5], v[60:61]                    // 00000000B0FC: D3B1403C 18027904
	v_pk_mul_f32 v[62:63], v[4:5], v[62:63]                    // 00000000B104: D3B1403E 18027D04
	v_cvt_pk_fp8_f32 v60, v60, v61                             // 00000000B10C: D2A2003C 00027B3C
	v_cvt_pk_fp8_f32 v60, v62, v63 op_sel:[0,0,1]              // 00000000B114: D2A2403C 00027F3E
	v_pk_mul_f32 v[76:77], v[4:5], v[76:77]                    // 00000000B11C: D3B1404C 18029904
	v_pk_mul_f32 v[78:79], v[4:5], v[78:79]                    // 00000000B124: D3B1404E 18029D04
	v_cvt_pk_fp8_f32 v76, v76, v77                             // 00000000B12C: D2A2004C 00029B4C
	v_cvt_pk_fp8_f32 v76, v78, v79 op_sel:[0,0,1]              // 00000000B134: D2A2404C 00029F4E
	v_rcp_f32_e32 v121, v121                                   // 00000000B13C: 7EF24579
	v_mov_b32_e32 v125, 0x358637bd                             // 00000000B140: 7EFA02FF 358637BD
	v_max3_f32 v125, |v92|, |v93|, v125                        // 00000000B148: D1D3037D 05F6BB5C
	v_max3_f32 v125, |v94|, |v95|, v125                        // 00000000B150: D1D3037D 05F6BF5E
	v_max3_f32 v125, |v108|, |v109|, v125                      // 00000000B158: D1D3037D 05F6DB6C
	v_max3_f32 v125, |v110|, |v111|, v125                      // 00000000B160: D1D3037D 05F6DF6E
	ds_write_b32 v128, v125                                    // 00000000B168: D81A0000 00007D80
	s_waitcnt lgkmcnt(0)                                       // 00000000B170: BF8CC07F
	s_barrier                                                  // 00000000B174: BF8A0000
	ds_read_b32 v4, v129                                       // 00000000B178: D86C0000 04000081
	ds_read_b32 v5, v129 offset:64                             // 00000000B180: D86C0040 05000081
	ds_read_b32 v6, v129 offset:128                            // 00000000B188: D86C0080 06000081
	ds_read_b32 v7, v129 offset:192                            // 00000000B190: D86C00C0 07000081
	ds_read_b32 v8, v129 offset:256                            // 00000000B198: D86C0100 08000081
	ds_read_b32 v9, v129 offset:320                            // 00000000B1A0: D86C0140 09000081
	ds_read_b32 v10, v129 offset:384                           // 00000000B1A8: D86C0180 0A000081
	ds_read_b32 v11, v129 offset:448                           // 00000000B1B0: D86C01C0 0B000081
	ds_read_b32 v12, v129 offset:512                           // 00000000B1B8: D86C0200 0C000081
	ds_read_b32 v13, v129 offset:576                           // 00000000B1C0: D86C0240 0D000081
	ds_read_b32 v14, v129 offset:640                           // 00000000B1C8: D86C0280 0E000081
	ds_read_b32 v15, v129 offset:704                           // 00000000B1D0: D86C02C0 0F000081
	ds_read_b32 v16, v129 offset:768                           // 00000000B1D8: D86C0300 10000081
	ds_read_b32 v17, v129 offset:832                           // 00000000B1E0: D86C0340 11000081
	ds_read_b32 v18, v129 offset:896                           // 00000000B1E8: D86C0380 12000081
	ds_read_b32 v19, v129 offset:960                           // 00000000B1F0: D86C03C0 13000081
	s_waitcnt lgkmcnt(0)                                       // 00000000B1F8: BF8CC07F
	s_barrier                                                  // 00000000B1FC: BF8A0000
	v_max3_f32 v125, |v4|, |v5|, v125                          // 00000000B200: D1D3037D 05F60B04
	v_max3_f32 v125, |v6|, |v7|, v125                          // 00000000B208: D1D3037D 05F60F06
	v_max3_f32 v125, |v8|, |v9|, v125                          // 00000000B210: D1D3037D 05F61308
	v_max3_f32 v125, |v10|, |v11|, v125                        // 00000000B218: D1D3037D 05F6170A
	v_max3_f32 v125, |v12|, |v13|, v125                        // 00000000B220: D1D3037D 05F61B0C
	v_max3_f32 v125, |v14|, |v15|, v125                        // 00000000B228: D1D3037D 05F61F0E
	v_max3_f32 v125, |v16|, |v17|, v125                        // 00000000B230: D1D3037D 05F62310
	v_max3_f32 v125, |v18|, |v19|, v125                        // 00000000B238: D1D3037D 05F62712
	v_rcp_f32_e32 v125, v125                                   // 00000000B240: 7EFA457D
	v_mov_b32_e32 v4, 0x43700000                               // 00000000B244: 7E0802FF 43700000
	v_mul_f32_e32 v125, v4, v125                               // 00000000B24C: 0AFAFB04
	v_mov_b32_e32 v4, v125                                     // 00000000B250: 7E08037D
	v_mov_b32_e32 v5, v4                                       // 00000000B254: 7E0A0304
	v_pk_mul_f32 v[92:93], v[4:5], v[92:93]                    // 00000000B258: D3B1405C 1802B904
	v_pk_mul_f32 v[94:95], v[4:5], v[94:95]                    // 00000000B260: D3B1405E 1802BD04
	v_cvt_pk_fp8_f32 v92, v92, v93                             // 00000000B268: D2A2005C 0002BB5C
	v_cvt_pk_fp8_f32 v92, v94, v95 op_sel:[0,0,1]              // 00000000B270: D2A2405C 0002BF5E
	v_pk_mul_f32 v[108:109], v[4:5], v[108:109]                // 00000000B278: D3B1406C 1802D904
	v_pk_mul_f32 v[110:111], v[4:5], v[110:111]                // 00000000B280: D3B1406E 1802DD04
	v_cvt_pk_fp8_f32 v108, v108, v109                          // 00000000B288: D2A2006C 0002DB6C
	v_cvt_pk_fp8_f32 v108, v110, v111 op_sel:[0,0,1]           // 00000000B290: D2A2406C 0002DF6E
	v_rcp_f32_e32 v125, v125                                   // 00000000B298: 7EFA457D
	v_mov_b32_e32 v122, 0x358637bd                             // 00000000B29C: 7EF402FF 358637BD
	v_max3_f32 v122, |v64|, |v65|, v122                        // 00000000B2A4: D1D3037A 05EA8340
	v_max3_f32 v122, |v66|, |v67|, v122                        // 00000000B2AC: D1D3037A 05EA8742
	v_max3_f32 v122, |v80|, |v81|, v122                        // 00000000B2B4: D1D3037A 05EAA350
	v_max3_f32 v122, |v82|, |v83|, v122                        // 00000000B2BC: D1D3037A 05EAA752
	ds_write_b32 v128, v122                                    // 00000000B2C4: D81A0000 00007A80
	s_waitcnt lgkmcnt(0)                                       // 00000000B2CC: BF8CC07F
	s_barrier                                                  // 00000000B2D0: BF8A0000
	ds_read_b32 v4, v129                                       // 00000000B2D4: D86C0000 04000081
	ds_read_b32 v5, v129 offset:64                             // 00000000B2DC: D86C0040 05000081
	ds_read_b32 v6, v129 offset:128                            // 00000000B2E4: D86C0080 06000081
	ds_read_b32 v7, v129 offset:192                            // 00000000B2EC: D86C00C0 07000081
	ds_read_b32 v8, v129 offset:256                            // 00000000B2F4: D86C0100 08000081
	ds_read_b32 v9, v129 offset:320                            // 00000000B2FC: D86C0140 09000081
	ds_read_b32 v10, v129 offset:384                           // 00000000B304: D86C0180 0A000081
	ds_read_b32 v11, v129 offset:448                           // 00000000B30C: D86C01C0 0B000081
	ds_read_b32 v12, v129 offset:512                           // 00000000B314: D86C0200 0C000081
	ds_read_b32 v13, v129 offset:576                           // 00000000B31C: D86C0240 0D000081
	ds_read_b32 v14, v129 offset:640                           // 00000000B324: D86C0280 0E000081
	ds_read_b32 v15, v129 offset:704                           // 00000000B32C: D86C02C0 0F000081
	ds_read_b32 v16, v129 offset:768                           // 00000000B334: D86C0300 10000081
	ds_read_b32 v17, v129 offset:832                           // 00000000B33C: D86C0340 11000081
	ds_read_b32 v18, v129 offset:896                           // 00000000B344: D86C0380 12000081
	ds_read_b32 v19, v129 offset:960                           // 00000000B34C: D86C03C0 13000081
	s_waitcnt lgkmcnt(0)                                       // 00000000B354: BF8CC07F
	s_barrier                                                  // 00000000B358: BF8A0000
	v_max3_f32 v122, |v4|, |v5|, v122                          // 00000000B35C: D1D3037A 05EA0B04
	v_max3_f32 v122, |v6|, |v7|, v122                          // 00000000B364: D1D3037A 05EA0F06
	v_max3_f32 v122, |v8|, |v9|, v122                          // 00000000B36C: D1D3037A 05EA1308
	v_max3_f32 v122, |v10|, |v11|, v122                        // 00000000B374: D1D3037A 05EA170A
	v_max3_f32 v122, |v12|, |v13|, v122                        // 00000000B37C: D1D3037A 05EA1B0C
	v_max3_f32 v122, |v14|, |v15|, v122                        // 00000000B384: D1D3037A 05EA1F0E
	v_max3_f32 v122, |v16|, |v17|, v122                        // 00000000B38C: D1D3037A 05EA2310
	v_max3_f32 v122, |v18|, |v19|, v122                        // 00000000B394: D1D3037A 05EA2712
	v_rcp_f32_e32 v122, v122                                   // 00000000B39C: 7EF4457A
	v_mov_b32_e32 v4, 0x43700000                               // 00000000B3A0: 7E0802FF 43700000
	v_mul_f32_e32 v122, v4, v122                               // 00000000B3A8: 0AF4F504
	v_mov_b32_e32 v4, v122                                     // 00000000B3AC: 7E08037A
	v_mov_b32_e32 v5, v4                                       // 00000000B3B0: 7E0A0304
	v_pk_mul_f32 v[64:65], v[4:5], v[64:65]                    // 00000000B3B4: D3B14040 18028104
	v_pk_mul_f32 v[66:67], v[4:5], v[66:67]                    // 00000000B3BC: D3B14042 18028504
	v_cvt_pk_fp8_f32 v64, v64, v65                             // 00000000B3C4: D2A20040 00028340
	v_cvt_pk_fp8_f32 v64, v66, v67 op_sel:[0,0,1]              // 00000000B3CC: D2A24040 00028742
	v_pk_mul_f32 v[80:81], v[4:5], v[80:81]                    // 00000000B3D4: D3B14050 1802A104
	v_pk_mul_f32 v[82:83], v[4:5], v[82:83]                    // 00000000B3DC: D3B14052 1802A504
	v_cvt_pk_fp8_f32 v80, v80, v81                             // 00000000B3E4: D2A20050 0002A350
	v_cvt_pk_fp8_f32 v80, v82, v83 op_sel:[0,0,1]              // 00000000B3EC: D2A24050 0002A752
	v_rcp_f32_e32 v122, v122                                   // 00000000B3F4: 7EF4457A
	v_mov_b32_e32 v126, 0x358637bd                             // 00000000B3F8: 7EFC02FF 358637BD
	v_max3_f32 v126, |v96|, |v97|, v126                        // 00000000B400: D1D3037E 05FAC360
	v_max3_f32 v126, |v98|, |v99|, v126                        // 00000000B408: D1D3037E 05FAC762
	v_max3_f32 v126, |v112|, |v113|, v126                      // 00000000B410: D1D3037E 05FAE370
	v_max3_f32 v126, |v114|, |v115|, v126                      // 00000000B418: D1D3037E 05FAE772
	ds_write_b32 v128, v126                                    // 00000000B420: D81A0000 00007E80
	s_waitcnt lgkmcnt(0)                                       // 00000000B428: BF8CC07F
	s_barrier                                                  // 00000000B42C: BF8A0000
	ds_read_b32 v4, v129                                       // 00000000B430: D86C0000 04000081
	ds_read_b32 v5, v129 offset:64                             // 00000000B438: D86C0040 05000081
	ds_read_b32 v6, v129 offset:128                            // 00000000B440: D86C0080 06000081
	ds_read_b32 v7, v129 offset:192                            // 00000000B448: D86C00C0 07000081
	ds_read_b32 v8, v129 offset:256                            // 00000000B450: D86C0100 08000081
	ds_read_b32 v9, v129 offset:320                            // 00000000B458: D86C0140 09000081
	ds_read_b32 v10, v129 offset:384                           // 00000000B460: D86C0180 0A000081
	ds_read_b32 v11, v129 offset:448                           // 00000000B468: D86C01C0 0B000081
	ds_read_b32 v12, v129 offset:512                           // 00000000B470: D86C0200 0C000081
	ds_read_b32 v13, v129 offset:576                           // 00000000B478: D86C0240 0D000081
	ds_read_b32 v14, v129 offset:640                           // 00000000B480: D86C0280 0E000081
	ds_read_b32 v15, v129 offset:704                           // 00000000B488: D86C02C0 0F000081
	ds_read_b32 v16, v129 offset:768                           // 00000000B490: D86C0300 10000081
	ds_read_b32 v17, v129 offset:832                           // 00000000B498: D86C0340 11000081
	ds_read_b32 v18, v129 offset:896                           // 00000000B4A0: D86C0380 12000081
	ds_read_b32 v19, v129 offset:960                           // 00000000B4A8: D86C03C0 13000081
	s_waitcnt lgkmcnt(0)                                       // 00000000B4B0: BF8CC07F
	s_barrier                                                  // 00000000B4B4: BF8A0000
	v_max3_f32 v126, |v4|, |v5|, v126                          // 00000000B4B8: D1D3037E 05FA0B04
	v_max3_f32 v126, |v6|, |v7|, v126                          // 00000000B4C0: D1D3037E 05FA0F06
	v_max3_f32 v126, |v8|, |v9|, v126                          // 00000000B4C8: D1D3037E 05FA1308
	v_max3_f32 v126, |v10|, |v11|, v126                        // 00000000B4D0: D1D3037E 05FA170A
	v_max3_f32 v126, |v12|, |v13|, v126                        // 00000000B4D8: D1D3037E 05FA1B0C
	v_max3_f32 v126, |v14|, |v15|, v126                        // 00000000B4E0: D1D3037E 05FA1F0E
	v_max3_f32 v126, |v16|, |v17|, v126                        // 00000000B4E8: D1D3037E 05FA2310
	v_max3_f32 v126, |v18|, |v19|, v126                        // 00000000B4F0: D1D3037E 05FA2712
	v_rcp_f32_e32 v126, v126                                   // 00000000B4F8: 7EFC457E
	v_mov_b32_e32 v4, 0x43700000                               // 00000000B4FC: 7E0802FF 43700000
	v_mul_f32_e32 v126, v4, v126                               // 00000000B504: 0AFCFD04
	v_mov_b32_e32 v4, v126                                     // 00000000B508: 7E08037E
	v_mov_b32_e32 v5, v4                                       // 00000000B50C: 7E0A0304
	v_pk_mul_f32 v[96:97], v[4:5], v[96:97]                    // 00000000B510: D3B14060 1802C104
	v_pk_mul_f32 v[98:99], v[4:5], v[98:99]                    // 00000000B518: D3B14062 1802C504
	v_cvt_pk_fp8_f32 v96, v96, v97                             // 00000000B520: D2A20060 0002C360
	v_cvt_pk_fp8_f32 v96, v98, v99 op_sel:[0,0,1]              // 00000000B528: D2A24060 0002C762
	v_pk_mul_f32 v[112:113], v[4:5], v[112:113]                // 00000000B530: D3B14070 1802E104
	v_pk_mul_f32 v[114:115], v[4:5], v[114:115]                // 00000000B538: D3B14072 1802E504
	v_cvt_pk_fp8_f32 v112, v112, v113                          // 00000000B540: D2A20070 0002E370
	v_cvt_pk_fp8_f32 v112, v114, v115 op_sel:[0,0,1]           // 00000000B548: D2A24070 0002E772
	v_rcp_f32_e32 v126, v126                                   // 00000000B550: 7EFC457E
	v_mov_b32_e32 v123, 0x358637bd                             // 00000000B554: 7EF602FF 358637BD
	v_max3_f32 v123, |v68|, |v69|, v123                        // 00000000B55C: D1D3037B 05EE8B44
	v_max3_f32 v123, |v70|, |v71|, v123                        // 00000000B564: D1D3037B 05EE8F46
	v_max3_f32 v123, |v84|, |v85|, v123                        // 00000000B56C: D1D3037B 05EEAB54
	v_max3_f32 v123, |v86|, |v87|, v123                        // 00000000B574: D1D3037B 05EEAF56
	ds_write_b32 v128, v123                                    // 00000000B57C: D81A0000 00007B80
	s_waitcnt lgkmcnt(0)                                       // 00000000B584: BF8CC07F
	s_barrier                                                  // 00000000B588: BF8A0000
	ds_read_b32 v4, v129                                       // 00000000B58C: D86C0000 04000081
	ds_read_b32 v5, v129 offset:64                             // 00000000B594: D86C0040 05000081
	ds_read_b32 v6, v129 offset:128                            // 00000000B59C: D86C0080 06000081
	ds_read_b32 v7, v129 offset:192                            // 00000000B5A4: D86C00C0 07000081
	ds_read_b32 v8, v129 offset:256                            // 00000000B5AC: D86C0100 08000081
	ds_read_b32 v9, v129 offset:320                            // 00000000B5B4: D86C0140 09000081
	ds_read_b32 v10, v129 offset:384                           // 00000000B5BC: D86C0180 0A000081
	ds_read_b32 v11, v129 offset:448                           // 00000000B5C4: D86C01C0 0B000081
	ds_read_b32 v12, v129 offset:512                           // 00000000B5CC: D86C0200 0C000081
	ds_read_b32 v13, v129 offset:576                           // 00000000B5D4: D86C0240 0D000081
	ds_read_b32 v14, v129 offset:640                           // 00000000B5DC: D86C0280 0E000081
	ds_read_b32 v15, v129 offset:704                           // 00000000B5E4: D86C02C0 0F000081
	ds_read_b32 v16, v129 offset:768                           // 00000000B5EC: D86C0300 10000081
	ds_read_b32 v17, v129 offset:832                           // 00000000B5F4: D86C0340 11000081
	ds_read_b32 v18, v129 offset:896                           // 00000000B5FC: D86C0380 12000081
	ds_read_b32 v19, v129 offset:960                           // 00000000B604: D86C03C0 13000081
	s_waitcnt lgkmcnt(0)                                       // 00000000B60C: BF8CC07F
	s_barrier                                                  // 00000000B610: BF8A0000
	v_max3_f32 v123, |v4|, |v5|, v123                          // 00000000B614: D1D3037B 05EE0B04
	v_max3_f32 v123, |v6|, |v7|, v123                          // 00000000B61C: D1D3037B 05EE0F06
	v_max3_f32 v123, |v8|, |v9|, v123                          // 00000000B624: D1D3037B 05EE1308
	v_max3_f32 v123, |v10|, |v11|, v123                        // 00000000B62C: D1D3037B 05EE170A
	v_max3_f32 v123, |v12|, |v13|, v123                        // 00000000B634: D1D3037B 05EE1B0C
	v_max3_f32 v123, |v14|, |v15|, v123                        // 00000000B63C: D1D3037B 05EE1F0E
	v_max3_f32 v123, |v16|, |v17|, v123                        // 00000000B644: D1D3037B 05EE2310
	v_max3_f32 v123, |v18|, |v19|, v123                        // 00000000B64C: D1D3037B 05EE2712
	v_rcp_f32_e32 v123, v123                                   // 00000000B654: 7EF6457B
	v_mov_b32_e32 v4, 0x43700000                               // 00000000B658: 7E0802FF 43700000
	v_mul_f32_e32 v123, v4, v123                               // 00000000B660: 0AF6F704
	v_mov_b32_e32 v4, v123                                     // 00000000B664: 7E08037B
	v_mov_b32_e32 v5, v4                                       // 00000000B668: 7E0A0304
	v_pk_mul_f32 v[68:69], v[4:5], v[68:69]                    // 00000000B66C: D3B14044 18028904
	v_pk_mul_f32 v[70:71], v[4:5], v[70:71]                    // 00000000B674: D3B14046 18028D04
	v_cvt_pk_fp8_f32 v68, v68, v69                             // 00000000B67C: D2A20044 00028B44
	v_cvt_pk_fp8_f32 v68, v70, v71 op_sel:[0,0,1]              // 00000000B684: D2A24044 00028F46
	v_pk_mul_f32 v[84:85], v[4:5], v[84:85]                    // 00000000B68C: D3B14054 1802A904
	v_pk_mul_f32 v[86:87], v[4:5], v[86:87]                    // 00000000B694: D3B14056 1802AD04
	v_cvt_pk_fp8_f32 v84, v84, v85                             // 00000000B69C: D2A20054 0002AB54
	v_cvt_pk_fp8_f32 v84, v86, v87 op_sel:[0,0,1]              // 00000000B6A4: D2A24054 0002AF56
	v_rcp_f32_e32 v123, v123                                   // 00000000B6AC: 7EF6457B
	v_mov_b32_e32 v127, 0x358637bd                             // 00000000B6B0: 7EFE02FF 358637BD
	v_max3_f32 v127, |v100|, |v101|, v127                      // 00000000B6B8: D1D3037F 05FECB64
	v_max3_f32 v127, |v102|, |v103|, v127                      // 00000000B6C0: D1D3037F 05FECF66
	v_max3_f32 v127, |v116|, |v117|, v127                      // 00000000B6C8: D1D3037F 05FEEB74
	v_max3_f32 v127, |v118|, |v119|, v127                      // 00000000B6D0: D1D3037F 05FEEF76
	ds_write_b32 v128, v127                                    // 00000000B6D8: D81A0000 00007F80
	s_waitcnt lgkmcnt(0)                                       // 00000000B6E0: BF8CC07F
	s_barrier                                                  // 00000000B6E4: BF8A0000
	ds_read_b32 v4, v129                                       // 00000000B6E8: D86C0000 04000081
	ds_read_b32 v5, v129 offset:64                             // 00000000B6F0: D86C0040 05000081
	ds_read_b32 v6, v129 offset:128                            // 00000000B6F8: D86C0080 06000081
	ds_read_b32 v7, v129 offset:192                            // 00000000B700: D86C00C0 07000081
	ds_read_b32 v8, v129 offset:256                            // 00000000B708: D86C0100 08000081
	ds_read_b32 v9, v129 offset:320                            // 00000000B710: D86C0140 09000081
	ds_read_b32 v10, v129 offset:384                           // 00000000B718: D86C0180 0A000081
	ds_read_b32 v11, v129 offset:448                           // 00000000B720: D86C01C0 0B000081
	ds_read_b32 v12, v129 offset:512                           // 00000000B728: D86C0200 0C000081
	ds_read_b32 v13, v129 offset:576                           // 00000000B730: D86C0240 0D000081
	ds_read_b32 v14, v129 offset:640                           // 00000000B738: D86C0280 0E000081
	ds_read_b32 v15, v129 offset:704                           // 00000000B740: D86C02C0 0F000081
	ds_read_b32 v16, v129 offset:768                           // 00000000B748: D86C0300 10000081
	ds_read_b32 v17, v129 offset:832                           // 00000000B750: D86C0340 11000081
	ds_read_b32 v18, v129 offset:896                           // 00000000B758: D86C0380 12000081
	ds_read_b32 v19, v129 offset:960                           // 00000000B760: D86C03C0 13000081
	s_waitcnt lgkmcnt(0)                                       // 00000000B768: BF8CC07F
	s_barrier                                                  // 00000000B76C: BF8A0000
	v_max3_f32 v127, |v4|, |v5|, v127                          // 00000000B770: D1D3037F 05FE0B04
	v_max3_f32 v127, |v6|, |v7|, v127                          // 00000000B778: D1D3037F 05FE0F06
	v_max3_f32 v127, |v8|, |v9|, v127                          // 00000000B780: D1D3037F 05FE1308
	v_max3_f32 v127, |v10|, |v11|, v127                        // 00000000B788: D1D3037F 05FE170A
	v_max3_f32 v127, |v12|, |v13|, v127                        // 00000000B790: D1D3037F 05FE1B0C
	v_max3_f32 v127, |v14|, |v15|, v127                        // 00000000B798: D1D3037F 05FE1F0E
	v_max3_f32 v127, |v16|, |v17|, v127                        // 00000000B7A0: D1D3037F 05FE2310
	v_max3_f32 v127, |v18|, |v19|, v127                        // 00000000B7A8: D1D3037F 05FE2712
	v_rcp_f32_e32 v127, v127                                   // 00000000B7B0: 7EFE457F
	v_mov_b32_e32 v4, 0x43700000                               // 00000000B7B4: 7E0802FF 43700000
	v_mul_f32_e32 v127, v4, v127                               // 00000000B7BC: 0AFEFF04
	v_mov_b32_e32 v4, v127                                     // 00000000B7C0: 7E08037F
	v_mov_b32_e32 v5, v4                                       // 00000000B7C4: 7E0A0304
	v_pk_mul_f32 v[100:101], v[4:5], v[100:101]                // 00000000B7C8: D3B14064 1802C904
	v_pk_mul_f32 v[102:103], v[4:5], v[102:103]                // 00000000B7D0: D3B14066 1802CD04
	v_cvt_pk_fp8_f32 v100, v100, v101                          // 00000000B7D8: D2A20064 0002CB64
	v_cvt_pk_fp8_f32 v100, v102, v103 op_sel:[0,0,1]           // 00000000B7E0: D2A24064 0002CF66
	v_pk_mul_f32 v[116:117], v[4:5], v[116:117]                // 00000000B7E8: D3B14074 1802E904
	v_pk_mul_f32 v[118:119], v[4:5], v[118:119]                // 00000000B7F0: D3B14076 1802ED04
	v_cvt_pk_fp8_f32 v116, v116, v117                          // 00000000B7F8: D2A20074 0002EB74
	v_cvt_pk_fp8_f32 v116, v118, v119 op_sel:[0,0,1]           // 00000000B800: D2A24074 0002EF76
	v_rcp_f32_e32 v127, v127                                   // 00000000B808: 7EFE457F
	v_lshrrev_b32_e32 v4, 5, v0                                // 00000000B80C: 20080085
	v_mul_lo_u32 v20, 34, v4                                   // 00000000B810: D2850014 000208A2
	v_and_b32_e32 v4, 31, v0                                   // 00000000B818: 2608009F
	v_lshrrev_b32_e32 v5, 4, v4                                // 00000000B81C: 200A0884
	v_add_u32_e32 v20, v5, v20                                 // 00000000B820: 68282905
	v_and_b32_e32 v4, 15, v0                                   // 00000000B824: 2608008F
	v_mul_lo_u32 v5, 2, v4                                     // 00000000B828: D2850005 00020882
	v_add_u32_e32 v20, v5, v20                                 // 00000000B830: 68282905
	s_mul_i32 s60, s7, 0x44                                    // 00000000B834: 923CFF07 00000044
	v_add_u32_e32 v20, s60, v20                                // 00000000B83C: 6828283C
	v_lshlrev_b32_e32 v20, 2, v20                              // 00000000B840: 24282882
	ds_write_b32 v20, v56                                      // 00000000B844: D81A0000 00003814
	ds_write_b32 v20, v60 offset:4352                          // 00000000B84C: D81A1100 00003C14
	ds_write_b32 v20, v64 offset:8704                          // 00000000B854: D81A2200 00004014
	ds_write_b32 v20, v68 offset:13056                         // 00000000B85C: D81A3300 00004414
	ds_write_b32 v20, v72 offset:1088                          // 00000000B864: D81A0440 00004814
	ds_write_b32 v20, v76 offset:5440                          // 00000000B86C: D81A1540 00004C14
	ds_write_b32 v20, v80 offset:9792                          // 00000000B874: D81A2640 00005014
	ds_write_b32 v20, v84 offset:14144                         // 00000000B87C: D81A3740 00005414
	ds_write_b32 v20, v88 offset:2176                          // 00000000B884: D81A0880 00005814
	ds_write_b32 v20, v92 offset:6528                          // 00000000B88C: D81A1980 00005C14
	ds_write_b32 v20, v96 offset:10880                         // 00000000B894: D81A2A80 00006014
	ds_write_b32 v20, v100 offset:15232                        // 00000000B89C: D81A3B80 00006414
	ds_write_b32 v20, v104 offset:3264                         // 00000000B8A4: D81A0CC0 00006814
	ds_write_b32 v20, v108 offset:7616                         // 00000000B8AC: D81A1DC0 00006C14
	ds_write_b32 v20, v112 offset:11968                        // 00000000B8B4: D81A2EC0 00007014
	ds_write_b32 v20, v116 offset:16320                        // 00000000B8BC: D81A3FC0 00007414
	v_lshrrev_b32_e32 v4, 5, v0                                // 00000000B8C4: 20080085
	v_xor_b32_e32 v5, 1, v4                                    // 00000000B8C8: 2A0A0881
	s_mul_i32 s60, s65, 1                                      // 00000000B8CC: 923C8141
	s_cmp_eq_u32 s88, 0                                        // 00000000B8D0: BF068058
	s_cselect_b32 s61, 1, 8                                    // 00000000B8D4: 853D8881
	s_mul_i32 s60, s61, s60                                    // 00000000B8D8: 923C3C3D
	v_readlane_b32 s82, v3, 0                                  // 00000000B8DC: D2890052 00010103
	s_lshr_b32 s61, s82, 24                                    // 00000000B8E4: 8F3D9852
	s_and_b32 s82, s82, 0xffffff                               // 00000000B8E8: 8652FF52 00FFFFFF
	s_mul_i32 s82, s82, s71                                    // 00000000B8F0: 92524752
	s_mul_i32 s61, s60, s61                                    // 00000000B8F4: 923D3D3C
	s_add_u32 s82, s82, s61                                    // 00000000B8F8: 80523D52
	v_mul_lo_u32 v6, v5, s82                                   // 00000000B8FC: D2850006 0000A505
	v_readlane_b32 s82, v3, 1                                  // 00000000B904: D2890052 00010303
	s_lshr_b32 s61, s82, 24                                    // 00000000B90C: 8F3D9852
	s_and_b32 s82, s82, 0xffffff                               // 00000000B910: 8652FF52 00FFFFFF
	s_mul_i32 s82, s82, s71                                    // 00000000B918: 92524752
	s_mul_i32 s61, s60, s61                                    // 00000000B91C: 923D3D3C
	s_add_u32 s82, s82, s61                                    // 00000000B920: 80523D52
	v_mul_lo_u32 v7, v4, s82                                   // 00000000B924: D2850007 0000A504
	v_add_u32_e32 v44, v6, v7                                  // 00000000B92C: 68580F06
	v_readlane_b32 s82, v3, 2                                  // 00000000B930: D2890052 00010503
	s_lshr_b32 s61, s82, 24                                    // 00000000B938: 8F3D9852
	s_and_b32 s82, s82, 0xffffff                               // 00000000B93C: 8652FF52 00FFFFFF
	s_mul_i32 s82, s82, s71                                    // 00000000B944: 92524752
	s_mul_i32 s61, s60, s61                                    // 00000000B948: 923D3D3C
	s_add_u32 s82, s82, s61                                    // 00000000B94C: 80523D52
	v_mul_lo_u32 v6, v5, s82                                   // 00000000B950: D2850006 0000A505
	v_readlane_b32 s82, v3, 3                                  // 00000000B958: D2890052 00010703
	s_lshr_b32 s61, s82, 24                                    // 00000000B960: 8F3D9852
	s_and_b32 s82, s82, 0xffffff                               // 00000000B964: 8652FF52 00FFFFFF
	s_mul_i32 s82, s82, s71                                    // 00000000B96C: 92524752
	s_mul_i32 s61, s60, s61                                    // 00000000B970: 923D3D3C
	s_add_u32 s82, s82, s61                                    // 00000000B974: 80523D52
	v_mul_lo_u32 v7, v4, s82                                   // 00000000B978: D2850007 0000A504
	v_add_u32_e32 v45, v6, v7                                  // 00000000B980: 685A0F06
	v_readlane_b32 s82, v3, 4                                  // 00000000B984: D2890052 00010903
	s_lshr_b32 s61, s82, 24                                    // 00000000B98C: 8F3D9852
	s_and_b32 s82, s82, 0xffffff                               // 00000000B990: 8652FF52 00FFFFFF
	s_mul_i32 s82, s82, s71                                    // 00000000B998: 92524752
	s_mul_i32 s61, s60, s61                                    // 00000000B99C: 923D3D3C
	s_add_u32 s82, s82, s61                                    // 00000000B9A0: 80523D52
	v_mul_lo_u32 v6, v5, s82                                   // 00000000B9A4: D2850006 0000A505
	v_readlane_b32 s82, v3, 5                                  // 00000000B9AC: D2890052 00010B03
	s_lshr_b32 s61, s82, 24                                    // 00000000B9B4: 8F3D9852
	s_and_b32 s82, s82, 0xffffff                               // 00000000B9B8: 8652FF52 00FFFFFF
	s_mul_i32 s82, s82, s71                                    // 00000000B9C0: 92524752
	s_mul_i32 s61, s60, s61                                    // 00000000B9C4: 923D3D3C
	s_add_u32 s82, s82, s61                                    // 00000000B9C8: 80523D52
	v_mul_lo_u32 v7, v4, s82                                   // 00000000B9CC: D2850007 0000A504
	v_add_u32_e32 v46, v6, v7                                  // 00000000B9D4: 685C0F06
	v_readlane_b32 s82, v3, 6                                  // 00000000B9D8: D2890052 00010D03
	s_lshr_b32 s61, s82, 24                                    // 00000000B9E0: 8F3D9852
	s_and_b32 s82, s82, 0xffffff                               // 00000000B9E4: 8652FF52 00FFFFFF
	s_mul_i32 s82, s82, s71                                    // 00000000B9EC: 92524752
	s_mul_i32 s61, s60, s61                                    // 00000000B9F0: 923D3D3C
	s_add_u32 s82, s82, s61                                    // 00000000B9F4: 80523D52
	v_mul_lo_u32 v6, v5, s82                                   // 00000000B9F8: D2850006 0000A505
	v_readlane_b32 s82, v3, 7                                  // 00000000BA00: D2890052 00010F03
	s_lshr_b32 s61, s82, 24                                    // 00000000BA08: 8F3D9852
	s_and_b32 s82, s82, 0xffffff                               // 00000000BA0C: 8652FF52 00FFFFFF
	s_mul_i32 s82, s82, s71                                    // 00000000BA14: 92524752
	s_mul_i32 s61, s60, s61                                    // 00000000BA18: 923D3D3C
	s_add_u32 s82, s82, s61                                    // 00000000BA1C: 80523D52
	v_mul_lo_u32 v7, v4, s82                                   // 00000000BA20: D2850007 0000A504
	v_add_u32_e32 v47, v6, v7                                  // 00000000BA28: 685E0F06
	v_readlane_b32 s82, v3, 8                                  // 00000000BA2C: D2890052 00011103
	s_lshr_b32 s61, s82, 24                                    // 00000000BA34: 8F3D9852
	s_and_b32 s82, s82, 0xffffff                               // 00000000BA38: 8652FF52 00FFFFFF
	s_mul_i32 s82, s82, s71                                    // 00000000BA40: 92524752
	s_mul_i32 s61, s60, s61                                    // 00000000BA44: 923D3D3C
	s_add_u32 s82, s82, s61                                    // 00000000BA48: 80523D52
	v_mul_lo_u32 v6, v5, s82                                   // 00000000BA4C: D2850006 0000A505
	v_readlane_b32 s82, v3, 9                                  // 00000000BA54: D2890052 00011303
	s_lshr_b32 s61, s82, 24                                    // 00000000BA5C: 8F3D9852
	s_and_b32 s82, s82, 0xffffff                               // 00000000BA60: 8652FF52 00FFFFFF
	s_mul_i32 s82, s82, s71                                    // 00000000BA68: 92524752
	s_mul_i32 s61, s60, s61                                    // 00000000BA6C: 923D3D3C
	s_add_u32 s82, s82, s61                                    // 00000000BA70: 80523D52
	v_mul_lo_u32 v7, v4, s82                                   // 00000000BA74: D2850007 0000A504
	v_add_u32_e32 v48, v6, v7                                  // 00000000BA7C: 68600F06
	v_readlane_b32 s82, v3, 10                                 // 00000000BA80: D2890052 00011503
	s_lshr_b32 s61, s82, 24                                    // 00000000BA88: 8F3D9852
	s_and_b32 s82, s82, 0xffffff                               // 00000000BA8C: 8652FF52 00FFFFFF
	s_mul_i32 s82, s82, s71                                    // 00000000BA94: 92524752
	s_mul_i32 s61, s60, s61                                    // 00000000BA98: 923D3D3C
	s_add_u32 s82, s82, s61                                    // 00000000BA9C: 80523D52
	v_mul_lo_u32 v6, v5, s82                                   // 00000000BAA0: D2850006 0000A505
	v_readlane_b32 s82, v3, 11                                 // 00000000BAA8: D2890052 00011703
	s_lshr_b32 s61, s82, 24                                    // 00000000BAB0: 8F3D9852
	s_and_b32 s82, s82, 0xffffff                               // 00000000BAB4: 8652FF52 00FFFFFF
	s_mul_i32 s82, s82, s71                                    // 00000000BABC: 92524752
	s_mul_i32 s61, s60, s61                                    // 00000000BAC0: 923D3D3C
	s_add_u32 s82, s82, s61                                    // 00000000BAC4: 80523D52
	v_mul_lo_u32 v7, v4, s82                                   // 00000000BAC8: D2850007 0000A504
	v_add_u32_e32 v49, v6, v7                                  // 00000000BAD0: 68620F06
	v_readlane_b32 s82, v3, 12                                 // 00000000BAD4: D2890052 00011903
	s_lshr_b32 s61, s82, 24                                    // 00000000BADC: 8F3D9852
	s_and_b32 s82, s82, 0xffffff                               // 00000000BAE0: 8652FF52 00FFFFFF
	s_mul_i32 s82, s82, s71                                    // 00000000BAE8: 92524752
	s_mul_i32 s61, s60, s61                                    // 00000000BAEC: 923D3D3C
	s_add_u32 s82, s82, s61                                    // 00000000BAF0: 80523D52
	v_mul_lo_u32 v6, v5, s82                                   // 00000000BAF4: D2850006 0000A505
	v_readlane_b32 s82, v3, 13                                 // 00000000BAFC: D2890052 00011B03
	s_lshr_b32 s61, s82, 24                                    // 00000000BB04: 8F3D9852
	s_and_b32 s82, s82, 0xffffff                               // 00000000BB08: 8652FF52 00FFFFFF
	s_mul_i32 s82, s82, s71                                    // 00000000BB10: 92524752
	s_mul_i32 s61, s60, s61                                    // 00000000BB14: 923D3D3C
	s_add_u32 s82, s82, s61                                    // 00000000BB18: 80523D52
	v_mul_lo_u32 v7, v4, s82                                   // 00000000BB1C: D2850007 0000A504
	v_add_u32_e32 v50, v6, v7                                  // 00000000BB24: 68640F06
	v_readlane_b32 s82, v3, 14                                 // 00000000BB28: D2890052 00011D03
	s_lshr_b32 s61, s82, 24                                    // 00000000BB30: 8F3D9852
	s_and_b32 s82, s82, 0xffffff                               // 00000000BB34: 8652FF52 00FFFFFF
	s_mul_i32 s82, s82, s71                                    // 00000000BB3C: 92524752
	s_mul_i32 s61, s60, s61                                    // 00000000BB40: 923D3D3C
	s_add_u32 s82, s82, s61                                    // 00000000BB44: 80523D52
	v_mul_lo_u32 v6, v5, s82                                   // 00000000BB48: D2850006 0000A505
	v_readlane_b32 s82, v3, 15                                 // 00000000BB50: D2890052 00011F03
	s_lshr_b32 s61, s82, 24                                    // 00000000BB58: 8F3D9852
	s_and_b32 s82, s82, 0xffffff                               // 00000000BB5C: 8652FF52 00FFFFFF
	s_mul_i32 s82, s82, s71                                    // 00000000BB64: 92524752
	s_mul_i32 s61, s60, s61                                    // 00000000BB68: 923D3D3C
	s_add_u32 s82, s82, s61                                    // 00000000BB6C: 80523D52
	v_mul_lo_u32 v7, v4, s82                                   // 00000000BB70: D2850007 0000A504
	v_add_u32_e32 v51, v6, v7                                  // 00000000BB78: 68660F06
	v_and_b32_e32 v4, 31, v0                                   // 00000000BB7C: 2608009F
	v_lshrrev_b32_e32 v4, 1, v4                                // 00000000BB80: 20080881
	s_cmp_eq_u32 s88, 0                                        // 00000000BB84: BF068058
	s_cselect_b32 s61, 2, 4                                    // 00000000BB88: 853D8482
	v_mul_lo_u32 v4, v4, s61                                   // 00000000BB8C: D2850004 00007B04
	v_and_b32_e64 v5, v0, 1                                    // 00000000BB94: D1130005 00010300
	v_add_u32_e32 v4, v4, v5                                   // 00000000BB9C: 68080B04
	v_lshlrev_b32_e32 v4, 2, v4                                // 00000000BBA0: 24080882
	v_add_u32_e32 v44, v44, v4                                 // 00000000BBA4: 6858092C
	v_add_u32_e32 v45, v45, v4                                 // 00000000BBA8: 685A092D
	v_add_u32_e32 v46, v46, v4                                 // 00000000BBAC: 685C092E
	v_add_u32_e32 v47, v47, v4                                 // 00000000BBB0: 685E092F
	v_add_u32_e32 v48, v48, v4                                 // 00000000BBB4: 68600930
	v_add_u32_e32 v49, v49, v4                                 // 00000000BBB8: 68620931
	v_add_u32_e32 v50, v50, v4                                 // 00000000BBBC: 68640932
	v_add_u32_e32 v51, v51, v4                                 // 00000000BBC0: 68660933
	s_waitcnt lgkmcnt(0)                                       // 00000000BBC4: BF8CC07F
	s_barrier                                                  // 00000000BBC8: BF8A0000
	ds_read_b32 v56, v21                                       // 00000000BBCC: D86C0000 38000015
	ds_read_b32 v57, v21 offset:64                             // 00000000BBD4: D86C0040 39000015
	ds_read_b32 v58, v21 offset:2176                           // 00000000BBDC: D86C0880 3A000015
	ds_read_b32 v59, v21 offset:2240                           // 00000000BBE4: D86C08C0 3B000015
	ds_read_b32 v60, v21 offset:4352                           // 00000000BBEC: D86C1100 3C000015
	ds_read_b32 v61, v21 offset:4416                           // 00000000BBF4: D86C1140 3D000015
	ds_read_b32 v62, v21 offset:6528                           // 00000000BBFC: D86C1980 3E000015
	ds_read_b32 v63, v21 offset:6592                           // 00000000BC04: D86C19C0 3F000015
	ds_read_b32 v64, v21 offset:8704                           // 00000000BC0C: D86C2200 40000015
	ds_read_b32 v65, v21 offset:8768                           // 00000000BC14: D86C2240 41000015
	ds_read_b32 v66, v21 offset:10880                          // 00000000BC1C: D86C2A80 42000015
	ds_read_b32 v67, v21 offset:10944                          // 00000000BC24: D86C2AC0 43000015
	ds_read_b32 v68, v21 offset:13056                          // 00000000BC2C: D86C3300 44000015
	ds_read_b32 v69, v21 offset:13120                          // 00000000BC34: D86C3340 45000015
	ds_read_b32 v70, v21 offset:15232                          // 00000000BC3C: D86C3B80 46000015
	ds_read_b32 v71, v21 offset:15296                          // 00000000BC44: D86C3BC0 47000015
	s_waitcnt lgkmcnt(0)                                       // 00000000BC4C: BF8CC07F
	s_mov_b32 s36, -1                                          // 00000000BC50: BEA400C1
	s_mov_b32 s37, -1                                          // 00000000BC54: BEA500C1
	v_mov_b32_e32 v7, 0                                        // 00000000BC58: 7E0E0280
	s_or_b32 s9, s9, 0x40000                                   // 00000000BC5C: 8709FF09 00040000
	s_mov_b64 exec, s[36:37]                                   // 00000000BC64: BEFE0124
	v_mov_b32_e32 v6, v44                                      // 00000000BC68: 7E0C032C
	s_mov_b64 s[60:61], 0                                      // 00000000BC6C: BEBC0180
	v_readlane_b32 s82, v3, 0                                  // 00000000BC70: D2890052 00010103
	s_and_b32 s82, s82, 0xffffff                               // 00000000BC78: 8652FF52 00FFFFFF
	s_cmp_lt_u32 s82, s66                                      // 00000000BC80: BF0A4252
	s_cselect_b32 s20, s36, s60                                // 00000000BC84: 85143C24
	v_readlane_b32 s82, v3, 1                                  // 00000000BC88: D2890052 00010303
	s_and_b32 s82, s82, 0xffffff                               // 00000000BC90: 8652FF52 00FFFFFF
	s_cmp_lt_u32 s82, s66                                      // 00000000BC98: BF0A4252
	s_cselect_b32 s21, s36, s60                                // 00000000BC9C: 85153C24
	s_mov_b64 exec, s[20:21]                                   // 00000000BCA0: BEFE0114
	buffer_store_dword v56, v6, s[8:11], 0 offen               // 00000000BCA4: E0701000 80023806
	buffer_store_dword v58, v6, s[8:11], 0 offen offset:128    // 00000000BCAC: E0701080 80023A06
	s_mov_b64 exec, s[36:37]                                   // 00000000BCB4: BEFE0124
	v_mov_b32_e32 v6, v45                                      // 00000000BCB8: 7E0C032D
	s_mov_b64 s[60:61], 0                                      // 00000000BCBC: BEBC0180
	v_readlane_b32 s82, v3, 2                                  // 00000000BCC0: D2890052 00010503
	s_and_b32 s82, s82, 0xffffff                               // 00000000BCC8: 8652FF52 00FFFFFF
	s_cmp_lt_u32 s82, s66                                      // 00000000BCD0: BF0A4252
	s_cselect_b32 s20, s36, s60                                // 00000000BCD4: 85143C24
	v_readlane_b32 s82, v3, 3                                  // 00000000BCD8: D2890052 00010703
	s_and_b32 s82, s82, 0xffffff                               // 00000000BCE0: 8652FF52 00FFFFFF
	s_cmp_lt_u32 s82, s66                                      // 00000000BCE8: BF0A4252
	s_cselect_b32 s21, s36, s60                                // 00000000BCEC: 85153C24
	s_mov_b64 exec, s[20:21]                                   // 00000000BCF0: BEFE0114
	buffer_store_dword v57, v6, s[8:11], 0 offen               // 00000000BCF4: E0701000 80023906
	buffer_store_dword v59, v6, s[8:11], 0 offen offset:128    // 00000000BCFC: E0701080 80023B06
	s_mov_b64 exec, s[36:37]                                   // 00000000BD04: BEFE0124
	v_mov_b32_e32 v6, v46                                      // 00000000BD08: 7E0C032E
	s_mov_b64 s[60:61], 0                                      // 00000000BD0C: BEBC0180
	v_readlane_b32 s82, v3, 4                                  // 00000000BD10: D2890052 00010903
	s_and_b32 s82, s82, 0xffffff                               // 00000000BD18: 8652FF52 00FFFFFF
	s_cmp_lt_u32 s82, s66                                      // 00000000BD20: BF0A4252
	s_cselect_b32 s20, s36, s60                                // 00000000BD24: 85143C24
	v_readlane_b32 s82, v3, 5                                  // 00000000BD28: D2890052 00010B03
	s_and_b32 s82, s82, 0xffffff                               // 00000000BD30: 8652FF52 00FFFFFF
	s_cmp_lt_u32 s82, s66                                      // 00000000BD38: BF0A4252
	s_cselect_b32 s21, s36, s60                                // 00000000BD3C: 85153C24
	s_mov_b64 exec, s[20:21]                                   // 00000000BD40: BEFE0114
	buffer_store_dword v60, v6, s[8:11], 0 offen               // 00000000BD44: E0701000 80023C06
	buffer_store_dword v62, v6, s[8:11], 0 offen offset:128    // 00000000BD4C: E0701080 80023E06
	s_mov_b64 exec, s[36:37]                                   // 00000000BD54: BEFE0124
	v_mov_b32_e32 v6, v47                                      // 00000000BD58: 7E0C032F
	s_mov_b64 s[60:61], 0                                      // 00000000BD5C: BEBC0180
	v_readlane_b32 s82, v3, 6                                  // 00000000BD60: D2890052 00010D03
	s_and_b32 s82, s82, 0xffffff                               // 00000000BD68: 8652FF52 00FFFFFF
	s_cmp_lt_u32 s82, s66                                      // 00000000BD70: BF0A4252
	s_cselect_b32 s20, s36, s60                                // 00000000BD74: 85143C24
	v_readlane_b32 s82, v3, 7                                  // 00000000BD78: D2890052 00010F03
	s_and_b32 s82, s82, 0xffffff                               // 00000000BD80: 8652FF52 00FFFFFF
	s_cmp_lt_u32 s82, s66                                      // 00000000BD88: BF0A4252
	s_cselect_b32 s21, s36, s60                                // 00000000BD8C: 85153C24
	s_mov_b64 exec, s[20:21]                                   // 00000000BD90: BEFE0114
	buffer_store_dword v61, v6, s[8:11], 0 offen               // 00000000BD94: E0701000 80023D06
	buffer_store_dword v63, v6, s[8:11], 0 offen offset:128    // 00000000BD9C: E0701080 80023F06
	s_mov_b64 exec, s[36:37]                                   // 00000000BDA4: BEFE0124
	v_mov_b32_e32 v6, v48                                      // 00000000BDA8: 7E0C0330
	s_mov_b64 s[60:61], 0                                      // 00000000BDAC: BEBC0180
	v_readlane_b32 s82, v3, 8                                  // 00000000BDB0: D2890052 00011103
	s_and_b32 s82, s82, 0xffffff                               // 00000000BDB8: 8652FF52 00FFFFFF
	s_cmp_lt_u32 s82, s66                                      // 00000000BDC0: BF0A4252
	s_cselect_b32 s20, s36, s60                                // 00000000BDC4: 85143C24
	v_readlane_b32 s82, v3, 9                                  // 00000000BDC8: D2890052 00011303
	s_and_b32 s82, s82, 0xffffff                               // 00000000BDD0: 8652FF52 00FFFFFF
	s_cmp_lt_u32 s82, s66                                      // 00000000BDD8: BF0A4252
	s_cselect_b32 s21, s36, s60                                // 00000000BDDC: 85153C24
	s_mov_b64 exec, s[20:21]                                   // 00000000BDE0: BEFE0114
	buffer_store_dword v64, v6, s[8:11], 0 offen               // 00000000BDE4: E0701000 80024006
	buffer_store_dword v66, v6, s[8:11], 0 offen offset:128    // 00000000BDEC: E0701080 80024206
	s_mov_b64 exec, s[36:37]                                   // 00000000BDF4: BEFE0124
	v_mov_b32_e32 v6, v49                                      // 00000000BDF8: 7E0C0331
	s_mov_b64 s[60:61], 0                                      // 00000000BDFC: BEBC0180
	v_readlane_b32 s82, v3, 10                                 // 00000000BE00: D2890052 00011503
	s_and_b32 s82, s82, 0xffffff                               // 00000000BE08: 8652FF52 00FFFFFF
	s_cmp_lt_u32 s82, s66                                      // 00000000BE10: BF0A4252
	s_cselect_b32 s20, s36, s60                                // 00000000BE14: 85143C24
	v_readlane_b32 s82, v3, 11                                 // 00000000BE18: D2890052 00011703
	s_and_b32 s82, s82, 0xffffff                               // 00000000BE20: 8652FF52 00FFFFFF
	s_cmp_lt_u32 s82, s66                                      // 00000000BE28: BF0A4252
	s_cselect_b32 s21, s36, s60                                // 00000000BE2C: 85153C24
	s_mov_b64 exec, s[20:21]                                   // 00000000BE30: BEFE0114
	buffer_store_dword v65, v6, s[8:11], 0 offen               // 00000000BE34: E0701000 80024106
	buffer_store_dword v67, v6, s[8:11], 0 offen offset:128    // 00000000BE3C: E0701080 80024306
	s_mov_b64 exec, s[36:37]                                   // 00000000BE44: BEFE0124
	v_mov_b32_e32 v6, v50                                      // 00000000BE48: 7E0C0332
	s_mov_b64 s[60:61], 0                                      // 00000000BE4C: BEBC0180
	v_readlane_b32 s82, v3, 12                                 // 00000000BE50: D2890052 00011903
	s_and_b32 s82, s82, 0xffffff                               // 00000000BE58: 8652FF52 00FFFFFF
	s_cmp_lt_u32 s82, s66                                      // 00000000BE60: BF0A4252
	s_cselect_b32 s20, s36, s60                                // 00000000BE64: 85143C24
	v_readlane_b32 s82, v3, 13                                 // 00000000BE68: D2890052 00011B03
	s_and_b32 s82, s82, 0xffffff                               // 00000000BE70: 8652FF52 00FFFFFF
	s_cmp_lt_u32 s82, s66                                      // 00000000BE78: BF0A4252
	s_cselect_b32 s21, s36, s60                                // 00000000BE7C: 85153C24
	s_mov_b64 exec, s[20:21]                                   // 00000000BE80: BEFE0114
	buffer_store_dword v68, v6, s[8:11], 0 offen               // 00000000BE84: E0701000 80024406
	buffer_store_dword v70, v6, s[8:11], 0 offen offset:128    // 00000000BE8C: E0701080 80024606
	s_mov_b64 exec, s[36:37]                                   // 00000000BE94: BEFE0124
	v_mov_b32_e32 v6, v51                                      // 00000000BE98: 7E0C0333
	s_mov_b64 s[60:61], 0                                      // 00000000BE9C: BEBC0180
	v_readlane_b32 s82, v3, 14                                 // 00000000BEA0: D2890052 00011D03
	s_and_b32 s82, s82, 0xffffff                               // 00000000BEA8: 8652FF52 00FFFFFF
	s_cmp_lt_u32 s82, s66                                      // 00000000BEB0: BF0A4252
	s_cselect_b32 s20, s36, s60                                // 00000000BEB4: 85143C24
	v_readlane_b32 s82, v3, 15                                 // 00000000BEB8: D2890052 00011F03
	s_and_b32 s82, s82, 0xffffff                               // 00000000BEC0: 8652FF52 00FFFFFF
	s_cmp_lt_u32 s82, s66                                      // 00000000BEC8: BF0A4252
	s_cselect_b32 s21, s36, s60                                // 00000000BECC: 85153C24
	s_mov_b64 exec, s[20:21]                                   // 00000000BED0: BEFE0114
	buffer_store_dword v69, v6, s[8:11], 0 offen               // 00000000BED4: E0701000 80024506
	buffer_store_dword v71, v6, s[8:11], 0 offen offset:128    // 00000000BEDC: E0701080 80024706
	s_mov_b64 exec, s[36:37]                                   // 00000000BEE4: BEFE0124
	s_cmp_eq_u32 s7, 0                                         // 00000000BEE8: BF068007
	s_cbranch_scc0 label_2ADC                                  // 00000000BEEC: BF84059D
	s_waitcnt vmcnt(16)                                        // 00000000BEF0: BF8C4F70
	s_mov_b32 s8, s90                                          // 00000000BEF4: BE88005A
	s_mov_b32 s9, s91                                          // 00000000BEF8: BE89005B
	s_mul_i32 s60, s66, s71                                    // 00000000BEFC: 923C4742
	s_add_u32 s8, s60, s8                                      // 00000000BF00: 8008083C
	s_addc_u32 s9, 0, s9                                       // 00000000BF04: 82090980
	s_lshr_b32 s71, s71, 5                                     // 00000000BF08: 8F478547
	s_mul_i32 s60, s66, s71                                    // 00000000BF0C: 923C4742
	s_mov_b32 s10, s60                                         // 00000000BF10: BE8A003C
	s_lshr_b32 s61, s65, 5                                     // 00000000BF14: 8F3D8541
	s_mul_i32 s60, s2, 8                                       // 00000000BF18: 923C8802
	v_lshrrev_b32_e32 v4, 24, v28                              // 00000000BF1C: 20083898
	v_mul_lo_u32 v4, s61, v4                                   // 00000000BF20: D2850004 0002083D
	v_and_b32_e32 v28, 0xffffff, v28                           // 00000000BF28: 263838FF 00FFFFFF
	v_mul_lo_u32 v28, s71, v28                                 // 00000000BF30: D285001C 00023847
	v_add_u32_e32 v28, v4, v28                                 // 00000000BF38: 68383904
	v_add_u32_e32 v28, s60, v28                                // 00000000BF3C: 6838383C
	v_lshrrev_b32_e32 v4, 24, v29                              // 00000000BF40: 20083A98
	v_mul_lo_u32 v4, s61, v4                                   // 00000000BF44: D2850004 0002083D
	v_and_b32_e32 v29, 0xffffff, v29                           // 00000000BF4C: 263A3AFF 00FFFFFF
	v_mul_lo_u32 v29, s71, v29                                 // 00000000BF54: D285001D 00023A47
	v_add_u32_e32 v29, v4, v29                                 // 00000000BF5C: 683A3B04
	v_add_u32_e32 v29, s60, v29                                // 00000000BF60: 683A3A3C
	v_lshrrev_b32_e32 v4, 24, v30                              // 00000000BF64: 20083C98
	v_mul_lo_u32 v4, s61, v4                                   // 00000000BF68: D2850004 0002083D
	v_and_b32_e32 v30, 0xffffff, v30                           // 00000000BF70: 263C3CFF 00FFFFFF
	v_mul_lo_u32 v30, s71, v30                                 // 00000000BF78: D285001E 00023C47
	v_add_u32_e32 v30, v4, v30                                 // 00000000BF80: 683C3D04
	v_add_u32_e32 v30, s60, v30                                // 00000000BF84: 683C3C3C
	v_lshrrev_b32_e32 v4, 24, v31                              // 00000000BF88: 20083E98
	v_mul_lo_u32 v4, s61, v4                                   // 00000000BF8C: D2850004 0002083D
	v_and_b32_e32 v31, 0xffffff, v31                           // 00000000BF94: 263E3EFF 00FFFFFF
	v_mul_lo_u32 v31, s71, v31                                 // 00000000BF9C: D285001F 00023E47
	v_add_u32_e32 v31, v4, v31                                 // 00000000BFA4: 683E3F04
	v_add_u32_e32 v31, s60, v31                                // 00000000BFA8: 683E3E3C
	s_mov_b64 exec, 0xffff                                     // 00000000BFAC: BEFE01FF 0000FFFF
	buffer_store_dword v120, v28, s[8:11], 0 offen             // 00000000BFB4: E0701000 8002781C
	buffer_store_dword v124, v28, s[8:11], 0 offen offset:4    // 00000000BFBC: E0701004 80027C1C
	buffer_store_dword v121, v29, s[8:11], 0 offen             // 00000000BFC4: E0701000 8002791D
	buffer_store_dword v125, v29, s[8:11], 0 offen offset:4    // 00000000BFCC: E0701004 80027D1D
	buffer_store_dword v122, v30, s[8:11], 0 offen             // 00000000BFD4: E0701000 80027A1E
	buffer_store_dword v126, v30, s[8:11], 0 offen offset:4    // 00000000BFDC: E0701004 80027E1E
	buffer_store_dword v123, v31, s[8:11], 0 offen             // 00000000BFE4: E0701000 80027B1F
	buffer_store_dword v127, v31, s[8:11], 0 offen offset:4    // 00000000BFEC: E0701004 80027F1F
	s_mov_b64 exec, s[36:37]                                   // 00000000BFF4: BEFE0124
	s_branch label_2ADC                                        // 00000000BFF8: BF82055A

000000000000bffc <label_2582>:
	ds_write_b64 v20, v[56:57]                                 // 00000000BFFC: D89A0000 00003814
	ds_write_b64 v20, v[60:61] offset:8704                     // 00000000C004: D89A2200 00003C14
	ds_write_b64 v20, v[64:65] offset:17408                    // 00000000C00C: D89A4400 00004014
	ds_write_b64 v20, v[68:69] offset:26112                    // 00000000C014: D89A6600 00004414
	ds_write_b64 v20, v[72:73] offset:2176                     // 00000000C01C: D89A0880 00004814
	ds_write_b64 v20, v[76:77] offset:10880                    // 00000000C024: D89A2A80 00004C14
	ds_write_b64 v20, v[80:81] offset:19584                    // 00000000C02C: D89A4C80 00005014
	ds_write_b64 v20, v[84:85] offset:28288                    // 00000000C034: D89A6E80 00005414
	ds_write_b64 v20, v[88:89] offset:4352                     // 00000000C03C: D89A1100 00005814
	ds_write_b64 v20, v[92:93] offset:13056                    // 00000000C044: D89A3300 00005C14
	ds_write_b64 v20, v[96:97] offset:21760                    // 00000000C04C: D89A5500 00006014
	ds_write_b64 v20, v[100:101] offset:30464                  // 00000000C054: D89A7700 00006414
	ds_write_b64 v20, v[104:105] offset:6528                   // 00000000C05C: D89A1980 00006814
	ds_write_b64 v20, v[108:109] offset:15232                  // 00000000C064: D89A3B80 00006C14
	ds_write_b64 v20, v[112:113] offset:23936                  // 00000000C06C: D89A5D80 00007014
	ds_write_b64 v20, v[116:117] offset:32640                  // 00000000C074: D89A7F80 00007414
	v_lshrrev_b32_e32 v4, 5, v0                                // 00000000C07C: 20080085
	v_xor_b32_e32 v5, 1, v4                                    // 00000000C080: 2A0A0881
	s_mul_i32 s60, s65, 1                                      // 00000000C084: 923C8141
	s_cmp_eq_u32 s88, 0                                        // 00000000C088: BF068058
	s_cselect_b32 s61, 1, 8                                    // 00000000C08C: 853D8881
	s_mul_i32 s60, s61, s60                                    // 00000000C090: 923C3C3D
	v_readlane_b32 s82, v3, 0                                  // 00000000C094: D2890052 00010103
	s_lshr_b32 s61, s82, 24                                    // 00000000C09C: 8F3D9852
	s_and_b32 s82, s82, 0xffffff                               // 00000000C0A0: 8652FF52 00FFFFFF
	s_mul_i32 s82, s82, s71                                    // 00000000C0A8: 92524752
	s_mul_i32 s61, s60, s61                                    // 00000000C0AC: 923D3D3C
	s_add_u32 s82, s82, s61                                    // 00000000C0B0: 80523D52
	v_mul_lo_u32 v6, v5, s82                                   // 00000000C0B4: D2850006 0000A505
	v_readlane_b32 s82, v3, 1                                  // 00000000C0BC: D2890052 00010303
	s_lshr_b32 s61, s82, 24                                    // 00000000C0C4: 8F3D9852
	s_and_b32 s82, s82, 0xffffff                               // 00000000C0C8: 8652FF52 00FFFFFF
	s_mul_i32 s82, s82, s71                                    // 00000000C0D0: 92524752
	s_mul_i32 s61, s60, s61                                    // 00000000C0D4: 923D3D3C
	s_add_u32 s82, s82, s61                                    // 00000000C0D8: 80523D52
	v_mul_lo_u32 v7, v4, s82                                   // 00000000C0DC: D2850007 0000A504
	v_add_u32_e32 v44, v6, v7                                  // 00000000C0E4: 68580F06
	v_readlane_b32 s82, v3, 2                                  // 00000000C0E8: D2890052 00010503
	s_lshr_b32 s61, s82, 24                                    // 00000000C0F0: 8F3D9852
	s_and_b32 s82, s82, 0xffffff                               // 00000000C0F4: 8652FF52 00FFFFFF
	s_mul_i32 s82, s82, s71                                    // 00000000C0FC: 92524752
	s_mul_i32 s61, s60, s61                                    // 00000000C100: 923D3D3C
	s_add_u32 s82, s82, s61                                    // 00000000C104: 80523D52
	v_mul_lo_u32 v6, v5, s82                                   // 00000000C108: D2850006 0000A505
	v_readlane_b32 s82, v3, 3                                  // 00000000C110: D2890052 00010703
	s_lshr_b32 s61, s82, 24                                    // 00000000C118: 8F3D9852
	s_and_b32 s82, s82, 0xffffff                               // 00000000C11C: 8652FF52 00FFFFFF
	s_mul_i32 s82, s82, s71                                    // 00000000C124: 92524752
	s_mul_i32 s61, s60, s61                                    // 00000000C128: 923D3D3C
	s_add_u32 s82, s82, s61                                    // 00000000C12C: 80523D52
	v_mul_lo_u32 v7, v4, s82                                   // 00000000C130: D2850007 0000A504
	v_add_u32_e32 v45, v6, v7                                  // 00000000C138: 685A0F06
	v_readlane_b32 s82, v3, 4                                  // 00000000C13C: D2890052 00010903
	s_lshr_b32 s61, s82, 24                                    // 00000000C144: 8F3D9852
	s_and_b32 s82, s82, 0xffffff                               // 00000000C148: 8652FF52 00FFFFFF
	s_mul_i32 s82, s82, s71                                    // 00000000C150: 92524752
	s_mul_i32 s61, s60, s61                                    // 00000000C154: 923D3D3C
	s_add_u32 s82, s82, s61                                    // 00000000C158: 80523D52
	v_mul_lo_u32 v6, v5, s82                                   // 00000000C15C: D2850006 0000A505
	v_readlane_b32 s82, v3, 5                                  // 00000000C164: D2890052 00010B03
	s_lshr_b32 s61, s82, 24                                    // 00000000C16C: 8F3D9852
	s_and_b32 s82, s82, 0xffffff                               // 00000000C170: 8652FF52 00FFFFFF
	s_mul_i32 s82, s82, s71                                    // 00000000C178: 92524752
	s_mul_i32 s61, s60, s61                                    // 00000000C17C: 923D3D3C
	s_add_u32 s82, s82, s61                                    // 00000000C180: 80523D52
	v_mul_lo_u32 v7, v4, s82                                   // 00000000C184: D2850007 0000A504
	v_add_u32_e32 v46, v6, v7                                  // 00000000C18C: 685C0F06
	v_readlane_b32 s82, v3, 6                                  // 00000000C190: D2890052 00010D03
	s_lshr_b32 s61, s82, 24                                    // 00000000C198: 8F3D9852
	s_and_b32 s82, s82, 0xffffff                               // 00000000C19C: 8652FF52 00FFFFFF
	s_mul_i32 s82, s82, s71                                    // 00000000C1A4: 92524752
	s_mul_i32 s61, s60, s61                                    // 00000000C1A8: 923D3D3C
	s_add_u32 s82, s82, s61                                    // 00000000C1AC: 80523D52
	v_mul_lo_u32 v6, v5, s82                                   // 00000000C1B0: D2850006 0000A505
	v_readlane_b32 s82, v3, 7                                  // 00000000C1B8: D2890052 00010F03
	s_lshr_b32 s61, s82, 24                                    // 00000000C1C0: 8F3D9852
	s_and_b32 s82, s82, 0xffffff                               // 00000000C1C4: 8652FF52 00FFFFFF
	s_mul_i32 s82, s82, s71                                    // 00000000C1CC: 92524752
	s_mul_i32 s61, s60, s61                                    // 00000000C1D0: 923D3D3C
	s_add_u32 s82, s82, s61                                    // 00000000C1D4: 80523D52
	v_mul_lo_u32 v7, v4, s82                                   // 00000000C1D8: D2850007 0000A504
	v_add_u32_e32 v47, v6, v7                                  // 00000000C1E0: 685E0F06
	v_readlane_b32 s82, v3, 8                                  // 00000000C1E4: D2890052 00011103
	s_lshr_b32 s61, s82, 24                                    // 00000000C1EC: 8F3D9852
	s_and_b32 s82, s82, 0xffffff                               // 00000000C1F0: 8652FF52 00FFFFFF
	s_mul_i32 s82, s82, s71                                    // 00000000C1F8: 92524752
	s_mul_i32 s61, s60, s61                                    // 00000000C1FC: 923D3D3C
	s_add_u32 s82, s82, s61                                    // 00000000C200: 80523D52
	v_mul_lo_u32 v6, v5, s82                                   // 00000000C204: D2850006 0000A505
	v_readlane_b32 s82, v3, 9                                  // 00000000C20C: D2890052 00011303
	s_lshr_b32 s61, s82, 24                                    // 00000000C214: 8F3D9852
	s_and_b32 s82, s82, 0xffffff                               // 00000000C218: 8652FF52 00FFFFFF
	s_mul_i32 s82, s82, s71                                    // 00000000C220: 92524752
	s_mul_i32 s61, s60, s61                                    // 00000000C224: 923D3D3C
	s_add_u32 s82, s82, s61                                    // 00000000C228: 80523D52
	v_mul_lo_u32 v7, v4, s82                                   // 00000000C22C: D2850007 0000A504
	v_add_u32_e32 v48, v6, v7                                  // 00000000C234: 68600F06
	v_readlane_b32 s82, v3, 10                                 // 00000000C238: D2890052 00011503
	s_lshr_b32 s61, s82, 24                                    // 00000000C240: 8F3D9852
	s_and_b32 s82, s82, 0xffffff                               // 00000000C244: 8652FF52 00FFFFFF
	s_mul_i32 s82, s82, s71                                    // 00000000C24C: 92524752
	s_mul_i32 s61, s60, s61                                    // 00000000C250: 923D3D3C
	s_add_u32 s82, s82, s61                                    // 00000000C254: 80523D52
	v_mul_lo_u32 v6, v5, s82                                   // 00000000C258: D2850006 0000A505
	v_readlane_b32 s82, v3, 11                                 // 00000000C260: D2890052 00011703
	s_lshr_b32 s61, s82, 24                                    // 00000000C268: 8F3D9852
	s_and_b32 s82, s82, 0xffffff                               // 00000000C26C: 8652FF52 00FFFFFF
	s_mul_i32 s82, s82, s71                                    // 00000000C274: 92524752
	s_mul_i32 s61, s60, s61                                    // 00000000C278: 923D3D3C
	s_add_u32 s82, s82, s61                                    // 00000000C27C: 80523D52
	v_mul_lo_u32 v7, v4, s82                                   // 00000000C280: D2850007 0000A504
	v_add_u32_e32 v49, v6, v7                                  // 00000000C288: 68620F06
	v_readlane_b32 s82, v3, 12                                 // 00000000C28C: D2890052 00011903
	s_lshr_b32 s61, s82, 24                                    // 00000000C294: 8F3D9852
	s_and_b32 s82, s82, 0xffffff                               // 00000000C298: 8652FF52 00FFFFFF
	s_mul_i32 s82, s82, s71                                    // 00000000C2A0: 92524752
	s_mul_i32 s61, s60, s61                                    // 00000000C2A4: 923D3D3C
	s_add_u32 s82, s82, s61                                    // 00000000C2A8: 80523D52
	v_mul_lo_u32 v6, v5, s82                                   // 00000000C2AC: D2850006 0000A505
	v_readlane_b32 s82, v3, 13                                 // 00000000C2B4: D2890052 00011B03
	s_lshr_b32 s61, s82, 24                                    // 00000000C2BC: 8F3D9852
	s_and_b32 s82, s82, 0xffffff                               // 00000000C2C0: 8652FF52 00FFFFFF
	s_mul_i32 s82, s82, s71                                    // 00000000C2C8: 92524752
	s_mul_i32 s61, s60, s61                                    // 00000000C2CC: 923D3D3C
	s_add_u32 s82, s82, s61                                    // 00000000C2D0: 80523D52
	v_mul_lo_u32 v7, v4, s82                                   // 00000000C2D4: D2850007 0000A504
	v_add_u32_e32 v50, v6, v7                                  // 00000000C2DC: 68640F06
	v_readlane_b32 s82, v3, 14                                 // 00000000C2E0: D2890052 00011D03
	s_lshr_b32 s61, s82, 24                                    // 00000000C2E8: 8F3D9852
	s_and_b32 s82, s82, 0xffffff                               // 00000000C2EC: 8652FF52 00FFFFFF
	s_mul_i32 s82, s82, s71                                    // 00000000C2F4: 92524752
	s_mul_i32 s61, s60, s61                                    // 00000000C2F8: 923D3D3C
	s_add_u32 s82, s82, s61                                    // 00000000C2FC: 80523D52
	v_mul_lo_u32 v6, v5, s82                                   // 00000000C300: D2850006 0000A505
	v_readlane_b32 s82, v3, 15                                 // 00000000C308: D2890052 00011F03
	s_lshr_b32 s61, s82, 24                                    // 00000000C310: 8F3D9852
	s_and_b32 s82, s82, 0xffffff                               // 00000000C314: 8652FF52 00FFFFFF
	s_mul_i32 s82, s82, s71                                    // 00000000C31C: 92524752
	s_mul_i32 s61, s60, s61                                    // 00000000C320: 923D3D3C
	s_add_u32 s82, s82, s61                                    // 00000000C324: 80523D52
	v_mul_lo_u32 v7, v4, s82                                   // 00000000C328: D2850007 0000A504
	v_add_u32_e32 v51, v6, v7                                  // 00000000C330: 68660F06
	v_and_b32_e32 v4, 31, v0                                   // 00000000C334: 2608009F
	v_lshrrev_b32_e32 v4, 1, v4                                // 00000000C338: 20080881
	s_cmp_eq_u32 s88, 0                                        // 00000000C33C: BF068058
	s_cselect_b32 s61, 2, 4                                    // 00000000C340: 853D8482
	v_mul_lo_u32 v4, v4, s61                                   // 00000000C344: D2850004 00007B04
	v_and_b32_e64 v5, v0, 1                                    // 00000000C34C: D1130005 00010300
	v_add_u32_e32 v4, v4, v5                                   // 00000000C354: 68080B04
	v_lshlrev_b32_e32 v4, 2, v4                                // 00000000C358: 24080882
	v_add_u32_e32 v44, v44, v4                                 // 00000000C35C: 6858092C
	v_add_u32_e32 v45, v45, v4                                 // 00000000C360: 685A092D
	v_add_u32_e32 v46, v46, v4                                 // 00000000C364: 685C092E
	v_add_u32_e32 v47, v47, v4                                 // 00000000C368: 685E092F
	v_add_u32_e32 v48, v48, v4                                 // 00000000C36C: 68600930
	v_add_u32_e32 v49, v49, v4                                 // 00000000C370: 68620931
	v_add_u32_e32 v50, v50, v4                                 // 00000000C374: 68640932
	v_add_u32_e32 v51, v51, v4                                 // 00000000C378: 68660933
	s_waitcnt lgkmcnt(0)                                       // 00000000C37C: BF8CC07F
	s_barrier                                                  // 00000000C380: BF8A0000
	ds_read_b32 v56, v21                                       // 00000000C384: D86C0000 38000015
	ds_read_b32 v57, v21 offset:64                             // 00000000C38C: D86C0040 39000015
	ds_read_b32 v60, v21 offset:2176                           // 00000000C394: D86C0880 3C000015
	ds_read_b32 v61, v21 offset:2240                           // 00000000C39C: D86C08C0 3D000015
	ds_read_b32 v64, v21 offset:4352                           // 00000000C3A4: D86C1100 40000015
	ds_read_b32 v65, v21 offset:4416                           // 00000000C3AC: D86C1140 41000015
	ds_read_b32 v68, v21 offset:6528                           // 00000000C3B4: D86C1980 44000015
	ds_read_b32 v69, v21 offset:6592                           // 00000000C3BC: D86C19C0 45000015
	ds_read_b32 v72, v21 offset:8704                           // 00000000C3C4: D86C2200 48000015
	ds_read_b32 v73, v21 offset:8768                           // 00000000C3CC: D86C2240 49000015
	ds_read_b32 v76, v21 offset:10880                          // 00000000C3D4: D86C2A80 4C000015
	ds_read_b32 v77, v21 offset:10944                          // 00000000C3DC: D86C2AC0 4D000015
	ds_read_b32 v80, v21 offset:13056                          // 00000000C3E4: D86C3300 50000015
	ds_read_b32 v81, v21 offset:13120                          // 00000000C3EC: D86C3340 51000015
	ds_read_b32 v84, v21 offset:15232                          // 00000000C3F4: D86C3B80 54000015
	ds_read_b32 v85, v21 offset:15296                          // 00000000C3FC: D86C3BC0 55000015
	ds_read_b32 v88, v21 offset:17408                          // 00000000C404: D86C4400 58000015
	ds_read_b32 v89, v21 offset:17472                          // 00000000C40C: D86C4440 59000015
	ds_read_b32 v92, v21 offset:19584                          // 00000000C414: D86C4C80 5C000015
	ds_read_b32 v93, v21 offset:19648                          // 00000000C41C: D86C4CC0 5D000015
	ds_read_b32 v96, v21 offset:21760                          // 00000000C424: D86C5500 60000015
	ds_read_b32 v97, v21 offset:21824                          // 00000000C42C: D86C5540 61000015
	ds_read_b32 v100, v21 offset:23936                         // 00000000C434: D86C5D80 64000015
	ds_read_b32 v101, v21 offset:24000                         // 00000000C43C: D86C5DC0 65000015
	ds_read_b32 v104, v21 offset:26112                         // 00000000C444: D86C6600 68000015
	ds_read_b32 v105, v21 offset:26176                         // 00000000C44C: D86C6640 69000015
	ds_read_b32 v108, v21 offset:28288                         // 00000000C454: D86C6E80 6C000015
	ds_read_b32 v109, v21 offset:28352                         // 00000000C45C: D86C6EC0 6D000015
	ds_read_b32 v112, v21 offset:30464                         // 00000000C464: D86C7700 70000015
	ds_read_b32 v113, v21 offset:30528                         // 00000000C46C: D86C7740 71000015
	ds_read_b32 v116, v21 offset:32640                         // 00000000C474: D86C7F80 74000015
	ds_read_b32 v117, v21 offset:32704                         // 00000000C47C: D86C7FC0 75000015
	s_waitcnt lgkmcnt(0)                                       // 00000000C484: BF8CC07F
	s_mov_b32 s36, -1                                          // 00000000C488: BEA400C1
	s_mov_b32 s37, -1                                          // 00000000C48C: BEA500C1
	v_mov_b32_e32 v7, 0                                        // 00000000C490: 7E0E0280
	s_mov_b64 exec, s[36:37]                                   // 00000000C494: BEFE0124
	v_mov_b32_e32 v6, v44                                      // 00000000C498: 7E0C032C
	s_mov_b64 s[60:61], 0                                      // 00000000C49C: BEBC0180
	v_readlane_b32 s82, v3, 0                                  // 00000000C4A0: D2890052 00010103
	s_and_b32 s82, s82, 0xffffff                               // 00000000C4A8: 8652FF52 00FFFFFF
	s_cmp_lt_u32 s82, s66                                      // 00000000C4B0: BF0A4252
	s_cselect_b32 s20, s36, s60                                // 00000000C4B4: 85143C24
	v_readlane_b32 s82, v3, 1                                  // 00000000C4B8: D2890052 00010303
	s_and_b32 s82, s82, 0xffffff                               // 00000000C4C0: 8652FF52 00FFFFFF
	s_cmp_lt_u32 s82, s66                                      // 00000000C4C8: BF0A4252
	s_cselect_b32 s21, s36, s60                                // 00000000C4CC: 85153C24
	s_mov_b64 exec, s[20:21]                                   // 00000000C4D0: BEFE0114
	global_atomic_add_f32 v6, v56, s[8:9]                      // 00000000C4D4: DD348000 00083806
	global_atomic_add_f32 v6, v60, s[8:9] offset:256           // 00000000C4DC: DD348100 00083C06
	global_atomic_add_f32 v6, v64, s[8:9] offset:512           // 00000000C4E4: DD348200 00084006
	global_atomic_add_f32 v6, v68, s[8:9] offset:768           // 00000000C4EC: DD348300 00084406
	s_mov_b64 exec, s[36:37]                                   // 00000000C4F4: BEFE0124
	v_mov_b32_e32 v6, v45                                      // 00000000C4F8: 7E0C032D
	s_mov_b64 s[60:61], 0                                      // 00000000C4FC: BEBC0180
	v_readlane_b32 s82, v3, 2                                  // 00000000C500: D2890052 00010503
	s_and_b32 s82, s82, 0xffffff                               // 00000000C508: 8652FF52 00FFFFFF
	s_cmp_lt_u32 s82, s66                                      // 00000000C510: BF0A4252
	s_cselect_b32 s20, s36, s60                                // 00000000C514: 85143C24
	v_readlane_b32 s82, v3, 3                                  // 00000000C518: D2890052 00010703
	s_and_b32 s82, s82, 0xffffff                               // 00000000C520: 8652FF52 00FFFFFF
	s_cmp_lt_u32 s82, s66                                      // 00000000C528: BF0A4252
	s_cselect_b32 s21, s36, s60                                // 00000000C52C: 85153C24
	s_mov_b64 exec, s[20:21]                                   // 00000000C530: BEFE0114
	global_atomic_add_f32 v6, v57, s[8:9]                      // 00000000C534: DD348000 00083906
	global_atomic_add_f32 v6, v61, s[8:9] offset:256           // 00000000C53C: DD348100 00083D06
	global_atomic_add_f32 v6, v65, s[8:9] offset:512           // 00000000C544: DD348200 00084106
	global_atomic_add_f32 v6, v69, s[8:9] offset:768           // 00000000C54C: DD348300 00084506
	s_mov_b64 exec, s[36:37]                                   // 00000000C554: BEFE0124
	v_mov_b32_e32 v6, v46                                      // 00000000C558: 7E0C032E
	s_mov_b64 s[60:61], 0                                      // 00000000C55C: BEBC0180
	v_readlane_b32 s82, v3, 4                                  // 00000000C560: D2890052 00010903
	s_and_b32 s82, s82, 0xffffff                               // 00000000C568: 8652FF52 00FFFFFF
	s_cmp_lt_u32 s82, s66                                      // 00000000C570: BF0A4252
	s_cselect_b32 s20, s36, s60                                // 00000000C574: 85143C24
	v_readlane_b32 s82, v3, 5                                  // 00000000C578: D2890052 00010B03
	s_and_b32 s82, s82, 0xffffff                               // 00000000C580: 8652FF52 00FFFFFF
	s_cmp_lt_u32 s82, s66                                      // 00000000C588: BF0A4252
	s_cselect_b32 s21, s36, s60                                // 00000000C58C: 85153C24
	s_mov_b64 exec, s[20:21]                                   // 00000000C590: BEFE0114
	global_atomic_add_f32 v6, v72, s[8:9]                      // 00000000C594: DD348000 00084806
	global_atomic_add_f32 v6, v76, s[8:9] offset:256           // 00000000C59C: DD348100 00084C06
	global_atomic_add_f32 v6, v80, s[8:9] offset:512           // 00000000C5A4: DD348200 00085006
	global_atomic_add_f32 v6, v84, s[8:9] offset:768           // 00000000C5AC: DD348300 00085406
	s_mov_b64 exec, s[36:37]                                   // 00000000C5B4: BEFE0124
	v_mov_b32_e32 v6, v47                                      // 00000000C5B8: 7E0C032F
	s_mov_b64 s[60:61], 0                                      // 00000000C5BC: BEBC0180
	v_readlane_b32 s82, v3, 6                                  // 00000000C5C0: D2890052 00010D03
	s_and_b32 s82, s82, 0xffffff                               // 00000000C5C8: 8652FF52 00FFFFFF
	s_cmp_lt_u32 s82, s66                                      // 00000000C5D0: BF0A4252
	s_cselect_b32 s20, s36, s60                                // 00000000C5D4: 85143C24
	v_readlane_b32 s82, v3, 7                                  // 00000000C5D8: D2890052 00010F03
	s_and_b32 s82, s82, 0xffffff                               // 00000000C5E0: 8652FF52 00FFFFFF
	s_cmp_lt_u32 s82, s66                                      // 00000000C5E8: BF0A4252
	s_cselect_b32 s21, s36, s60                                // 00000000C5EC: 85153C24
	s_mov_b64 exec, s[20:21]                                   // 00000000C5F0: BEFE0114
	global_atomic_add_f32 v6, v73, s[8:9]                      // 00000000C5F4: DD348000 00084906
	global_atomic_add_f32 v6, v77, s[8:9] offset:256           // 00000000C5FC: DD348100 00084D06
	global_atomic_add_f32 v6, v81, s[8:9] offset:512           // 00000000C604: DD348200 00085106
	global_atomic_add_f32 v6, v85, s[8:9] offset:768           // 00000000C60C: DD348300 00085506
	s_mov_b64 exec, s[36:37]                                   // 00000000C614: BEFE0124
	v_mov_b32_e32 v6, v48                                      // 00000000C618: 7E0C0330
	s_mov_b64 s[60:61], 0                                      // 00000000C61C: BEBC0180
	v_readlane_b32 s82, v3, 8                                  // 00000000C620: D2890052 00011103
	s_and_b32 s82, s82, 0xffffff                               // 00000000C628: 8652FF52 00FFFFFF
	s_cmp_lt_u32 s82, s66                                      // 00000000C630: BF0A4252
	s_cselect_b32 s20, s36, s60                                // 00000000C634: 85143C24
	v_readlane_b32 s82, v3, 9                                  // 00000000C638: D2890052 00011303
	s_and_b32 s82, s82, 0xffffff                               // 00000000C640: 8652FF52 00FFFFFF
	s_cmp_lt_u32 s82, s66                                      // 00000000C648: BF0A4252
	s_cselect_b32 s21, s36, s60                                // 00000000C64C: 85153C24
	s_mov_b64 exec, s[20:21]                                   // 00000000C650: BEFE0114
	global_atomic_add_f32 v6, v88, s[8:9]                      // 00000000C654: DD348000 00085806
	global_atomic_add_f32 v6, v92, s[8:9] offset:256           // 00000000C65C: DD348100 00085C06
	global_atomic_add_f32 v6, v96, s[8:9] offset:512           // 00000000C664: DD348200 00086006
	global_atomic_add_f32 v6, v100, s[8:9] offset:768          // 00000000C66C: DD348300 00086406
	s_mov_b64 exec, s[36:37]                                   // 00000000C674: BEFE0124
	v_mov_b32_e32 v6, v49                                      // 00000000C678: 7E0C0331
	s_mov_b64 s[60:61], 0                                      // 00000000C67C: BEBC0180
	v_readlane_b32 s82, v3, 10                                 // 00000000C680: D2890052 00011503
	s_and_b32 s82, s82, 0xffffff                               // 00000000C688: 8652FF52 00FFFFFF
	s_cmp_lt_u32 s82, s66                                      // 00000000C690: BF0A4252
	s_cselect_b32 s20, s36, s60                                // 00000000C694: 85143C24
	v_readlane_b32 s82, v3, 11                                 // 00000000C698: D2890052 00011703
	s_and_b32 s82, s82, 0xffffff                               // 00000000C6A0: 8652FF52 00FFFFFF
	s_cmp_lt_u32 s82, s66                                      // 00000000C6A8: BF0A4252
	s_cselect_b32 s21, s36, s60                                // 00000000C6AC: 85153C24
	s_mov_b64 exec, s[20:21]                                   // 00000000C6B0: BEFE0114
	global_atomic_add_f32 v6, v89, s[8:9]                      // 00000000C6B4: DD348000 00085906
	global_atomic_add_f32 v6, v93, s[8:9] offset:256           // 00000000C6BC: DD348100 00085D06
	global_atomic_add_f32 v6, v97, s[8:9] offset:512           // 00000000C6C4: DD348200 00086106
	global_atomic_add_f32 v6, v101, s[8:9] offset:768          // 00000000C6CC: DD348300 00086506
	s_mov_b64 exec, s[36:37]                                   // 00000000C6D4: BEFE0124
	v_mov_b32_e32 v6, v50                                      // 00000000C6D8: 7E0C0332
	s_mov_b64 s[60:61], 0                                      // 00000000C6DC: BEBC0180
	v_readlane_b32 s82, v3, 12                                 // 00000000C6E0: D2890052 00011903
	s_and_b32 s82, s82, 0xffffff                               // 00000000C6E8: 8652FF52 00FFFFFF
	s_cmp_lt_u32 s82, s66                                      // 00000000C6F0: BF0A4252
	s_cselect_b32 s20, s36, s60                                // 00000000C6F4: 85143C24
	v_readlane_b32 s82, v3, 13                                 // 00000000C6F8: D2890052 00011B03
	s_and_b32 s82, s82, 0xffffff                               // 00000000C700: 8652FF52 00FFFFFF
	s_cmp_lt_u32 s82, s66                                      // 00000000C708: BF0A4252
	s_cselect_b32 s21, s36, s60                                // 00000000C70C: 85153C24
	s_mov_b64 exec, s[20:21]                                   // 00000000C710: BEFE0114
	global_atomic_add_f32 v6, v104, s[8:9]                     // 00000000C714: DD348000 00086806
	global_atomic_add_f32 v6, v108, s[8:9] offset:256          // 00000000C71C: DD348100 00086C06
	global_atomic_add_f32 v6, v112, s[8:9] offset:512          // 00000000C724: DD348200 00087006
	global_atomic_add_f32 v6, v116, s[8:9] offset:768          // 00000000C72C: DD348300 00087406
	s_mov_b64 exec, s[36:37]                                   // 00000000C734: BEFE0124
	v_mov_b32_e32 v6, v51                                      // 00000000C738: 7E0C0333
	s_mov_b64 s[60:61], 0                                      // 00000000C73C: BEBC0180
	v_readlane_b32 s82, v3, 14                                 // 00000000C740: D2890052 00011D03
	s_and_b32 s82, s82, 0xffffff                               // 00000000C748: 8652FF52 00FFFFFF
	s_cmp_lt_u32 s82, s66                                      // 00000000C750: BF0A4252
	s_cselect_b32 s20, s36, s60                                // 00000000C754: 85143C24
	v_readlane_b32 s82, v3, 15                                 // 00000000C758: D2890052 00011F03
	s_and_b32 s82, s82, 0xffffff                               // 00000000C760: 8652FF52 00FFFFFF
	s_cmp_lt_u32 s82, s66                                      // 00000000C768: BF0A4252
	s_cselect_b32 s21, s36, s60                                // 00000000C76C: 85153C24
	s_mov_b64 exec, s[20:21]                                   // 00000000C770: BEFE0114
	global_atomic_add_f32 v6, v105, s[8:9]                     // 00000000C774: DD348000 00086906
	global_atomic_add_f32 v6, v109, s[8:9] offset:256          // 00000000C77C: DD348100 00086D06
	global_atomic_add_f32 v6, v113, s[8:9] offset:512          // 00000000C784: DD348200 00087106
	global_atomic_add_f32 v6, v117, s[8:9] offset:768          // 00000000C78C: DD348300 00087506
	s_mov_b64 exec, s[36:37]                                   // 00000000C794: BEFE0124
	ds_write_b64 v20, v[58:59]                                 // 00000000C798: D89A0000 00003A14
	ds_write_b64 v20, v[62:63] offset:8704                     // 00000000C7A0: D89A2200 00003E14
	ds_write_b64 v20, v[66:67] offset:17408                    // 00000000C7A8: D89A4400 00004214
	ds_write_b64 v20, v[70:71] offset:26112                    // 00000000C7B0: D89A6600 00004614
	ds_write_b64 v20, v[74:75] offset:2176                     // 00000000C7B8: D89A0880 00004A14
	ds_write_b64 v20, v[78:79] offset:10880                    // 00000000C7C0: D89A2A80 00004E14
	ds_write_b64 v20, v[82:83] offset:19584                    // 00000000C7C8: D89A4C80 00005214
	ds_write_b64 v20, v[86:87] offset:28288                    // 00000000C7D0: D89A6E80 00005614
	ds_write_b64 v20, v[90:91] offset:4352                     // 00000000C7D8: D89A1100 00005A14
	ds_write_b64 v20, v[94:95] offset:13056                    // 00000000C7E0: D89A3300 00005E14
	ds_write_b64 v20, v[98:99] offset:21760                    // 00000000C7E8: D89A5500 00006214
	ds_write_b64 v20, v[102:103] offset:30464                  // 00000000C7F0: D89A7700 00006614
	ds_write_b64 v20, v[106:107] offset:6528                   // 00000000C7F8: D89A1980 00006A14
	ds_write_b64 v20, v[110:111] offset:15232                  // 00000000C800: D89A3B80 00006E14
	ds_write_b64 v20, v[114:115] offset:23936                  // 00000000C808: D89A5D80 00007214
	ds_write_b64 v20, v[118:119] offset:32640                  // 00000000C810: D89A7F80 00007614
	s_waitcnt lgkmcnt(0)                                       // 00000000C818: BF8CC07F
	s_barrier                                                  // 00000000C81C: BF8A0000
	ds_read_b32 v58, v21                                       // 00000000C820: D86C0000 3A000015
	ds_read_b32 v59, v21 offset:64                             // 00000000C828: D86C0040 3B000015
	ds_read_b32 v62, v21 offset:2176                           // 00000000C830: D86C0880 3E000015
	ds_read_b32 v63, v21 offset:2240                           // 00000000C838: D86C08C0 3F000015
	ds_read_b32 v66, v21 offset:4352                           // 00000000C840: D86C1100 42000015
	ds_read_b32 v67, v21 offset:4416                           // 00000000C848: D86C1140 43000015
	ds_read_b32 v70, v21 offset:6528                           // 00000000C850: D86C1980 46000015
	ds_read_b32 v71, v21 offset:6592                           // 00000000C858: D86C19C0 47000015
	ds_read_b32 v74, v21 offset:8704                           // 00000000C860: D86C2200 4A000015
	ds_read_b32 v75, v21 offset:8768                           // 00000000C868: D86C2240 4B000015
	ds_read_b32 v78, v21 offset:10880                          // 00000000C870: D86C2A80 4E000015
	ds_read_b32 v79, v21 offset:10944                          // 00000000C878: D86C2AC0 4F000015
	ds_read_b32 v82, v21 offset:13056                          // 00000000C880: D86C3300 52000015
	ds_read_b32 v83, v21 offset:13120                          // 00000000C888: D86C3340 53000015
	ds_read_b32 v86, v21 offset:15232                          // 00000000C890: D86C3B80 56000015
	ds_read_b32 v87, v21 offset:15296                          // 00000000C898: D86C3BC0 57000015
	ds_read_b32 v90, v21 offset:17408                          // 00000000C8A0: D86C4400 5A000015
	ds_read_b32 v91, v21 offset:17472                          // 00000000C8A8: D86C4440 5B000015
	ds_read_b32 v94, v21 offset:19584                          // 00000000C8B0: D86C4C80 5E000015
	ds_read_b32 v95, v21 offset:19648                          // 00000000C8B8: D86C4CC0 5F000015
	ds_read_b32 v98, v21 offset:21760                          // 00000000C8C0: D86C5500 62000015
	ds_read_b32 v99, v21 offset:21824                          // 00000000C8C8: D86C5540 63000015
	ds_read_b32 v102, v21 offset:23936                         // 00000000C8D0: D86C5D80 66000015
	ds_read_b32 v103, v21 offset:24000                         // 00000000C8D8: D86C5DC0 67000015
	ds_read_b32 v106, v21 offset:26112                         // 00000000C8E0: D86C6600 6A000015
	ds_read_b32 v107, v21 offset:26176                         // 00000000C8E8: D86C6640 6B000015
	ds_read_b32 v110, v21 offset:28288                         // 00000000C8F0: D86C6E80 6E000015
	ds_read_b32 v111, v21 offset:28352                         // 00000000C8F8: D86C6EC0 6F000015
	ds_read_b32 v114, v21 offset:30464                         // 00000000C900: D86C7700 72000015
	ds_read_b32 v115, v21 offset:30528                         // 00000000C908: D86C7740 73000015
	ds_read_b32 v118, v21 offset:32640                         // 00000000C910: D86C7F80 76000015
	ds_read_b32 v119, v21 offset:32704                         // 00000000C918: D86C7FC0 77000015
	s_waitcnt lgkmcnt(0)                                       // 00000000C920: BF8CC07F
	v_mov_b32_e32 v7, 0                                        // 00000000C924: 7E0E0280
	s_mov_b64 exec, s[36:37]                                   // 00000000C928: BEFE0124
	v_mov_b32_e32 v6, v44                                      // 00000000C92C: 7E0C032C
	s_mov_b64 s[60:61], 0                                      // 00000000C930: BEBC0180
	v_readlane_b32 s82, v3, 0                                  // 00000000C934: D2890052 00010103
	s_and_b32 s82, s82, 0xffffff                               // 00000000C93C: 8652FF52 00FFFFFF
	s_cmp_lt_u32 s82, s66                                      // 00000000C944: BF0A4252
	s_cselect_b32 s20, s36, s60                                // 00000000C948: 85143C24
	v_readlane_b32 s82, v3, 1                                  // 00000000C94C: D2890052 00010303
	s_and_b32 s82, s82, 0xffffff                               // 00000000C954: 8652FF52 00FFFFFF
	s_cmp_lt_u32 s82, s66                                      // 00000000C95C: BF0A4252
	s_cselect_b32 s21, s36, s60                                // 00000000C960: 85153C24
	s_mov_b64 exec, s[20:21]                                   // 00000000C964: BEFE0114
	global_atomic_add_f32 v6, v58, s[8:9] offset:8             // 00000000C968: DD348008 00083A06
	global_atomic_add_f32 v6, v62, s[8:9] offset:264           // 00000000C970: DD348108 00083E06
	global_atomic_add_f32 v6, v66, s[8:9] offset:520           // 00000000C978: DD348208 00084206
	global_atomic_add_f32 v6, v70, s[8:9] offset:776           // 00000000C980: DD348308 00084606
	s_mov_b64 exec, s[36:37]                                   // 00000000C988: BEFE0124
	v_mov_b32_e32 v6, v45                                      // 00000000C98C: 7E0C032D
	s_mov_b64 s[60:61], 0                                      // 00000000C990: BEBC0180
	v_readlane_b32 s82, v3, 2                                  // 00000000C994: D2890052 00010503
	s_and_b32 s82, s82, 0xffffff                               // 00000000C99C: 8652FF52 00FFFFFF
	s_cmp_lt_u32 s82, s66                                      // 00000000C9A4: BF0A4252
	s_cselect_b32 s20, s36, s60                                // 00000000C9A8: 85143C24
	v_readlane_b32 s82, v3, 3                                  // 00000000C9AC: D2890052 00010703
	s_and_b32 s82, s82, 0xffffff                               // 00000000C9B4: 8652FF52 00FFFFFF
	s_cmp_lt_u32 s82, s66                                      // 00000000C9BC: BF0A4252
	s_cselect_b32 s21, s36, s60                                // 00000000C9C0: 85153C24
	s_mov_b64 exec, s[20:21]                                   // 00000000C9C4: BEFE0114
	global_atomic_add_f32 v6, v59, s[8:9] offset:8             // 00000000C9C8: DD348008 00083B06
	global_atomic_add_f32 v6, v63, s[8:9] offset:264           // 00000000C9D0: DD348108 00083F06
	global_atomic_add_f32 v6, v67, s[8:9] offset:520           // 00000000C9D8: DD348208 00084306
	global_atomic_add_f32 v6, v71, s[8:9] offset:776           // 00000000C9E0: DD348308 00084706
	s_mov_b64 exec, s[36:37]                                   // 00000000C9E8: BEFE0124
	v_mov_b32_e32 v6, v46                                      // 00000000C9EC: 7E0C032E
	s_mov_b64 s[60:61], 0                                      // 00000000C9F0: BEBC0180
	v_readlane_b32 s82, v3, 4                                  // 00000000C9F4: D2890052 00010903
	s_and_b32 s82, s82, 0xffffff                               // 00000000C9FC: 8652FF52 00FFFFFF
	s_cmp_lt_u32 s82, s66                                      // 00000000CA04: BF0A4252
	s_cselect_b32 s20, s36, s60                                // 00000000CA08: 85143C24
	v_readlane_b32 s82, v3, 5                                  // 00000000CA0C: D2890052 00010B03
	s_and_b32 s82, s82, 0xffffff                               // 00000000CA14: 8652FF52 00FFFFFF
	s_cmp_lt_u32 s82, s66                                      // 00000000CA1C: BF0A4252
	s_cselect_b32 s21, s36, s60                                // 00000000CA20: 85153C24
	s_mov_b64 exec, s[20:21]                                   // 00000000CA24: BEFE0114
	global_atomic_add_f32 v6, v74, s[8:9] offset:8             // 00000000CA28: DD348008 00084A06
	global_atomic_add_f32 v6, v78, s[8:9] offset:264           // 00000000CA30: DD348108 00084E06
	global_atomic_add_f32 v6, v82, s[8:9] offset:520           // 00000000CA38: DD348208 00085206
	global_atomic_add_f32 v6, v86, s[8:9] offset:776           // 00000000CA40: DD348308 00085606
	s_mov_b64 exec, s[36:37]                                   // 00000000CA48: BEFE0124
	v_mov_b32_e32 v6, v47                                      // 00000000CA4C: 7E0C032F
	s_mov_b64 s[60:61], 0                                      // 00000000CA50: BEBC0180
	v_readlane_b32 s82, v3, 6                                  // 00000000CA54: D2890052 00010D03
	s_and_b32 s82, s82, 0xffffff                               // 00000000CA5C: 8652FF52 00FFFFFF
	s_cmp_lt_u32 s82, s66                                      // 00000000CA64: BF0A4252
	s_cselect_b32 s20, s36, s60                                // 00000000CA68: 85143C24
	v_readlane_b32 s82, v3, 7                                  // 00000000CA6C: D2890052 00010F03
	s_and_b32 s82, s82, 0xffffff                               // 00000000CA74: 8652FF52 00FFFFFF
	s_cmp_lt_u32 s82, s66                                      // 00000000CA7C: BF0A4252
	s_cselect_b32 s21, s36, s60                                // 00000000CA80: 85153C24
	s_mov_b64 exec, s[20:21]                                   // 00000000CA84: BEFE0114
	global_atomic_add_f32 v6, v75, s[8:9] offset:8             // 00000000CA88: DD348008 00084B06
	global_atomic_add_f32 v6, v79, s[8:9] offset:264           // 00000000CA90: DD348108 00084F06
	global_atomic_add_f32 v6, v83, s[8:9] offset:520           // 00000000CA98: DD348208 00085306
	global_atomic_add_f32 v6, v87, s[8:9] offset:776           // 00000000CAA0: DD348308 00085706
	s_mov_b64 exec, s[36:37]                                   // 00000000CAA8: BEFE0124
	v_mov_b32_e32 v6, v48                                      // 00000000CAAC: 7E0C0330
	s_mov_b64 s[60:61], 0                                      // 00000000CAB0: BEBC0180
	v_readlane_b32 s82, v3, 8                                  // 00000000CAB4: D2890052 00011103
	s_and_b32 s82, s82, 0xffffff                               // 00000000CABC: 8652FF52 00FFFFFF
	s_cmp_lt_u32 s82, s66                                      // 00000000CAC4: BF0A4252
	s_cselect_b32 s20, s36, s60                                // 00000000CAC8: 85143C24
	v_readlane_b32 s82, v3, 9                                  // 00000000CACC: D2890052 00011303
	s_and_b32 s82, s82, 0xffffff                               // 00000000CAD4: 8652FF52 00FFFFFF
	s_cmp_lt_u32 s82, s66                                      // 00000000CADC: BF0A4252
	s_cselect_b32 s21, s36, s60                                // 00000000CAE0: 85153C24
	s_mov_b64 exec, s[20:21]                                   // 00000000CAE4: BEFE0114
	global_atomic_add_f32 v6, v90, s[8:9] offset:8             // 00000000CAE8: DD348008 00085A06
	global_atomic_add_f32 v6, v94, s[8:9] offset:264           // 00000000CAF0: DD348108 00085E06
	global_atomic_add_f32 v6, v98, s[8:9] offset:520           // 00000000CAF8: DD348208 00086206
	global_atomic_add_f32 v6, v102, s[8:9] offset:776          // 00000000CB00: DD348308 00086606
	s_mov_b64 exec, s[36:37]                                   // 00000000CB08: BEFE0124
	v_mov_b32_e32 v6, v49                                      // 00000000CB0C: 7E0C0331
	s_mov_b64 s[60:61], 0                                      // 00000000CB10: BEBC0180
	v_readlane_b32 s82, v3, 10                                 // 00000000CB14: D2890052 00011503
	s_and_b32 s82, s82, 0xffffff                               // 00000000CB1C: 8652FF52 00FFFFFF
	s_cmp_lt_u32 s82, s66                                      // 00000000CB24: BF0A4252
	s_cselect_b32 s20, s36, s60                                // 00000000CB28: 85143C24
	v_readlane_b32 s82, v3, 11                                 // 00000000CB2C: D2890052 00011703
	s_and_b32 s82, s82, 0xffffff                               // 00000000CB34: 8652FF52 00FFFFFF
	s_cmp_lt_u32 s82, s66                                      // 00000000CB3C: BF0A4252
	s_cselect_b32 s21, s36, s60                                // 00000000CB40: 85153C24
	s_mov_b64 exec, s[20:21]                                   // 00000000CB44: BEFE0114
	global_atomic_add_f32 v6, v91, s[8:9] offset:8             // 00000000CB48: DD348008 00085B06
	global_atomic_add_f32 v6, v95, s[8:9] offset:264           // 00000000CB50: DD348108 00085F06
	global_atomic_add_f32 v6, v99, s[8:9] offset:520           // 00000000CB58: DD348208 00086306
	global_atomic_add_f32 v6, v103, s[8:9] offset:776          // 00000000CB60: DD348308 00086706
	s_mov_b64 exec, s[36:37]                                   // 00000000CB68: BEFE0124
	v_mov_b32_e32 v6, v50                                      // 00000000CB6C: 7E0C0332
	s_mov_b64 s[60:61], 0                                      // 00000000CB70: BEBC0180
	v_readlane_b32 s82, v3, 12                                 // 00000000CB74: D2890052 00011903
	s_and_b32 s82, s82, 0xffffff                               // 00000000CB7C: 8652FF52 00FFFFFF
	s_cmp_lt_u32 s82, s66                                      // 00000000CB84: BF0A4252
	s_cselect_b32 s20, s36, s60                                // 00000000CB88: 85143C24
	v_readlane_b32 s82, v3, 13                                 // 00000000CB8C: D2890052 00011B03
	s_and_b32 s82, s82, 0xffffff                               // 00000000CB94: 8652FF52 00FFFFFF
	s_cmp_lt_u32 s82, s66                                      // 00000000CB9C: BF0A4252
	s_cselect_b32 s21, s36, s60                                // 00000000CBA0: 85153C24
	s_mov_b64 exec, s[20:21]                                   // 00000000CBA4: BEFE0114
	global_atomic_add_f32 v6, v106, s[8:9] offset:8            // 00000000CBA8: DD348008 00086A06
	global_atomic_add_f32 v6, v110, s[8:9] offset:264          // 00000000CBB0: DD348108 00086E06
	global_atomic_add_f32 v6, v114, s[8:9] offset:520          // 00000000CBB8: DD348208 00087206
	global_atomic_add_f32 v6, v118, s[8:9] offset:776          // 00000000CBC0: DD348308 00087606
	s_mov_b64 exec, s[36:37]                                   // 00000000CBC8: BEFE0124
	v_mov_b32_e32 v6, v51                                      // 00000000CBCC: 7E0C0333
	s_mov_b64 s[60:61], 0                                      // 00000000CBD0: BEBC0180
	v_readlane_b32 s82, v3, 14                                 // 00000000CBD4: D2890052 00011D03
	s_and_b32 s82, s82, 0xffffff                               // 00000000CBDC: 8652FF52 00FFFFFF
	s_cmp_lt_u32 s82, s66                                      // 00000000CBE4: BF0A4252
	s_cselect_b32 s20, s36, s60                                // 00000000CBE8: 85143C24
	v_readlane_b32 s82, v3, 15                                 // 00000000CBEC: D2890052 00011F03
	s_and_b32 s82, s82, 0xffffff                               // 00000000CBF4: 8652FF52 00FFFFFF
	s_cmp_lt_u32 s82, s66                                      // 00000000CBFC: BF0A4252
	s_cselect_b32 s21, s36, s60                                // 00000000CC00: 85153C24
	s_mov_b64 exec, s[20:21]                                   // 00000000CC04: BEFE0114
	global_atomic_add_f32 v6, v107, s[8:9] offset:8            // 00000000CC08: DD348008 00086B06
	global_atomic_add_f32 v6, v111, s[8:9] offset:264          // 00000000CC10: DD348108 00086F06
	global_atomic_add_f32 v6, v115, s[8:9] offset:520          // 00000000CC18: DD348208 00087306
	global_atomic_add_f32 v6, v119, s[8:9] offset:776          // 00000000CC20: DD348308 00087706
	s_mov_b64 exec, s[36:37]                                   // 00000000CC28: BEFE0124
	ds_write_b64 v20, v[120:121]                               // 00000000CC2C: D89A0000 00007814
	ds_write_b64 v20, v[124:125] offset:8704                   // 00000000CC34: D89A2200 00007C14
	ds_write_b64 v20, v[128:129] offset:17408                  // 00000000CC3C: D89A4400 00008014
	ds_write_b64 v20, v[132:133] offset:26112                  // 00000000CC44: D89A6600 00008414
	ds_write_b64 v20, v[136:137] offset:2176                   // 00000000CC4C: D89A0880 00008814
	ds_write_b64 v20, v[140:141] offset:10880                  // 00000000CC54: D89A2A80 00008C14
	ds_write_b64 v20, v[144:145] offset:19584                  // 00000000CC5C: D89A4C80 00009014
	ds_write_b64 v20, v[148:149] offset:28288                  // 00000000CC64: D89A6E80 00009414
	ds_write_b64 v20, v[152:153] offset:4352                   // 00000000CC6C: D89A1100 00009814
	ds_write_b64 v20, v[156:157] offset:13056                  // 00000000CC74: D89A3300 00009C14
	ds_write_b64 v20, v[160:161] offset:21760                  // 00000000CC7C: D89A5500 0000A014
	ds_write_b64 v20, v[164:165] offset:30464                  // 00000000CC84: D89A7700 0000A414
	ds_write_b64 v20, v[168:169] offset:6528                   // 00000000CC8C: D89A1980 0000A814
	ds_write_b64 v20, v[172:173] offset:15232                  // 00000000CC94: D89A3B80 0000AC14
	ds_write_b64 v20, v[176:177] offset:23936                  // 00000000CC9C: D89A5D80 0000B014
	ds_write_b64 v20, v[180:181] offset:32640                  // 00000000CCA4: D89A7F80 0000B414
	s_waitcnt lgkmcnt(0)                                       // 00000000CCAC: BF8CC07F
	s_barrier                                                  // 00000000CCB0: BF8A0000
	ds_read_b32 v120, v21                                      // 00000000CCB4: D86C0000 78000015
	ds_read_b32 v121, v21 offset:64                            // 00000000CCBC: D86C0040 79000015
	ds_read_b32 v124, v21 offset:2176                          // 00000000CCC4: D86C0880 7C000015
	ds_read_b32 v125, v21 offset:2240                          // 00000000CCCC: D86C08C0 7D000015
	ds_read_b32 v128, v21 offset:4352                          // 00000000CCD4: D86C1100 80000015
	ds_read_b32 v129, v21 offset:4416                          // 00000000CCDC: D86C1140 81000015
	ds_read_b32 v132, v21 offset:6528                          // 00000000CCE4: D86C1980 84000015
	ds_read_b32 v133, v21 offset:6592                          // 00000000CCEC: D86C19C0 85000015
	ds_read_b32 v136, v21 offset:8704                          // 00000000CCF4: D86C2200 88000015
	ds_read_b32 v137, v21 offset:8768                          // 00000000CCFC: D86C2240 89000015
	ds_read_b32 v140, v21 offset:10880                         // 00000000CD04: D86C2A80 8C000015
	ds_read_b32 v141, v21 offset:10944                         // 00000000CD0C: D86C2AC0 8D000015
	ds_read_b32 v144, v21 offset:13056                         // 00000000CD14: D86C3300 90000015
	ds_read_b32 v145, v21 offset:13120                         // 00000000CD1C: D86C3340 91000015
	ds_read_b32 v148, v21 offset:15232                         // 00000000CD24: D86C3B80 94000015
	ds_read_b32 v149, v21 offset:15296                         // 00000000CD2C: D86C3BC0 95000015
	ds_read_b32 v152, v21 offset:17408                         // 00000000CD34: D86C4400 98000015
	ds_read_b32 v153, v21 offset:17472                         // 00000000CD3C: D86C4440 99000015
	ds_read_b32 v156, v21 offset:19584                         // 00000000CD44: D86C4C80 9C000015
	ds_read_b32 v157, v21 offset:19648                         // 00000000CD4C: D86C4CC0 9D000015
	ds_read_b32 v160, v21 offset:21760                         // 00000000CD54: D86C5500 A0000015
	ds_read_b32 v161, v21 offset:21824                         // 00000000CD5C: D86C5540 A1000015
	ds_read_b32 v164, v21 offset:23936                         // 00000000CD64: D86C5D80 A4000015
	ds_read_b32 v165, v21 offset:24000                         // 00000000CD6C: D86C5DC0 A5000015
	ds_read_b32 v168, v21 offset:26112                         // 00000000CD74: D86C6600 A8000015
	ds_read_b32 v169, v21 offset:26176                         // 00000000CD7C: D86C6640 A9000015
	ds_read_b32 v172, v21 offset:28288                         // 00000000CD84: D86C6E80 AC000015
	ds_read_b32 v173, v21 offset:28352                         // 00000000CD8C: D86C6EC0 AD000015
	ds_read_b32 v176, v21 offset:30464                         // 00000000CD94: D86C7700 B0000015
	ds_read_b32 v177, v21 offset:30528                         // 00000000CD9C: D86C7740 B1000015
	ds_read_b32 v180, v21 offset:32640                         // 00000000CDA4: D86C7F80 B4000015
	ds_read_b32 v181, v21 offset:32704                         // 00000000CDAC: D86C7FC0 B5000015
	s_mul_i32 s60, s65, 4                                      // 00000000CDB4: 923C8441
	s_add_u32 s8, s60, s8                                      // 00000000CDB8: 8008083C
	s_addc_u32 s9, 0, s9                                       // 00000000CDBC: 82090980
	s_waitcnt lgkmcnt(0)                                       // 00000000CDC0: BF8CC07F
	v_mov_b32_e32 v7, 0                                        // 00000000CDC4: 7E0E0280
	s_mov_b64 exec, s[36:37]                                   // 00000000CDC8: BEFE0124
	v_mov_b32_e32 v6, v44                                      // 00000000CDCC: 7E0C032C
	s_mov_b64 s[60:61], 0                                      // 00000000CDD0: BEBC0180
	v_readlane_b32 s82, v3, 0                                  // 00000000CDD4: D2890052 00010103
	s_and_b32 s82, s82, 0xffffff                               // 00000000CDDC: 8652FF52 00FFFFFF
	s_cmp_lt_u32 s82, s66                                      // 00000000CDE4: BF0A4252
	s_cselect_b32 s20, s36, s60                                // 00000000CDE8: 85143C24
	v_readlane_b32 s82, v3, 1                                  // 00000000CDEC: D2890052 00010303
	s_and_b32 s82, s82, 0xffffff                               // 00000000CDF4: 8652FF52 00FFFFFF
	s_cmp_lt_u32 s82, s66                                      // 00000000CDFC: BF0A4252
	s_cselect_b32 s21, s36, s60                                // 00000000CE00: 85153C24
	s_mov_b64 exec, s[20:21]                                   // 00000000CE04: BEFE0114
	global_atomic_add_f32 v6, v120, s[8:9]                     // 00000000CE08: DD348000 00087806
	global_atomic_add_f32 v6, v124, s[8:9] offset:256          // 00000000CE10: DD348100 00087C06
	global_atomic_add_f32 v6, v128, s[8:9] offset:512          // 00000000CE18: DD348200 00088006
	global_atomic_add_f32 v6, v132, s[8:9] offset:768          // 00000000CE20: DD348300 00088406
	s_mov_b64 exec, s[36:37]                                   // 00000000CE28: BEFE0124
	v_mov_b32_e32 v6, v45                                      // 00000000CE2C: 7E0C032D
	s_mov_b64 s[60:61], 0                                      // 00000000CE30: BEBC0180
	v_readlane_b32 s82, v3, 2                                  // 00000000CE34: D2890052 00010503
	s_and_b32 s82, s82, 0xffffff                               // 00000000CE3C: 8652FF52 00FFFFFF
	s_cmp_lt_u32 s82, s66                                      // 00000000CE44: BF0A4252
	s_cselect_b32 s20, s36, s60                                // 00000000CE48: 85143C24
	v_readlane_b32 s82, v3, 3                                  // 00000000CE4C: D2890052 00010703
	s_and_b32 s82, s82, 0xffffff                               // 00000000CE54: 8652FF52 00FFFFFF
	s_cmp_lt_u32 s82, s66                                      // 00000000CE5C: BF0A4252
	s_cselect_b32 s21, s36, s60                                // 00000000CE60: 85153C24
	s_mov_b64 exec, s[20:21]                                   // 00000000CE64: BEFE0114
	global_atomic_add_f32 v6, v121, s[8:9]                     // 00000000CE68: DD348000 00087906
	global_atomic_add_f32 v6, v125, s[8:9] offset:256          // 00000000CE70: DD348100 00087D06
	global_atomic_add_f32 v6, v129, s[8:9] offset:512          // 00000000CE78: DD348200 00088106
	global_atomic_add_f32 v6, v133, s[8:9] offset:768          // 00000000CE80: DD348300 00088506
	s_mov_b64 exec, s[36:37]                                   // 00000000CE88: BEFE0124
	v_mov_b32_e32 v6, v46                                      // 00000000CE8C: 7E0C032E
	s_mov_b64 s[60:61], 0                                      // 00000000CE90: BEBC0180
	v_readlane_b32 s82, v3, 4                                  // 00000000CE94: D2890052 00010903
	s_and_b32 s82, s82, 0xffffff                               // 00000000CE9C: 8652FF52 00FFFFFF
	s_cmp_lt_u32 s82, s66                                      // 00000000CEA4: BF0A4252
	s_cselect_b32 s20, s36, s60                                // 00000000CEA8: 85143C24
	v_readlane_b32 s82, v3, 5                                  // 00000000CEAC: D2890052 00010B03
	s_and_b32 s82, s82, 0xffffff                               // 00000000CEB4: 8652FF52 00FFFFFF
	s_cmp_lt_u32 s82, s66                                      // 00000000CEBC: BF0A4252
	s_cselect_b32 s21, s36, s60                                // 00000000CEC0: 85153C24
	s_mov_b64 exec, s[20:21]                                   // 00000000CEC4: BEFE0114
	global_atomic_add_f32 v6, v136, s[8:9]                     // 00000000CEC8: DD348000 00088806
	global_atomic_add_f32 v6, v140, s[8:9] offset:256          // 00000000CED0: DD348100 00088C06
	global_atomic_add_f32 v6, v144, s[8:9] offset:512          // 00000000CED8: DD348200 00089006
	global_atomic_add_f32 v6, v148, s[8:9] offset:768          // 00000000CEE0: DD348300 00089406
	s_mov_b64 exec, s[36:37]                                   // 00000000CEE8: BEFE0124
	v_mov_b32_e32 v6, v47                                      // 00000000CEEC: 7E0C032F
	s_mov_b64 s[60:61], 0                                      // 00000000CEF0: BEBC0180
	v_readlane_b32 s82, v3, 6                                  // 00000000CEF4: D2890052 00010D03
	s_and_b32 s82, s82, 0xffffff                               // 00000000CEFC: 8652FF52 00FFFFFF
	s_cmp_lt_u32 s82, s66                                      // 00000000CF04: BF0A4252
	s_cselect_b32 s20, s36, s60                                // 00000000CF08: 85143C24
	v_readlane_b32 s82, v3, 7                                  // 00000000CF0C: D2890052 00010F03
	s_and_b32 s82, s82, 0xffffff                               // 00000000CF14: 8652FF52 00FFFFFF
	s_cmp_lt_u32 s82, s66                                      // 00000000CF1C: BF0A4252
	s_cselect_b32 s21, s36, s60                                // 00000000CF20: 85153C24
	s_mov_b64 exec, s[20:21]                                   // 00000000CF24: BEFE0114
	global_atomic_add_f32 v6, v137, s[8:9]                     // 00000000CF28: DD348000 00088906
	global_atomic_add_f32 v6, v141, s[8:9] offset:256          // 00000000CF30: DD348100 00088D06
	global_atomic_add_f32 v6, v145, s[8:9] offset:512          // 00000000CF38: DD348200 00089106
	global_atomic_add_f32 v6, v149, s[8:9] offset:768          // 00000000CF40: DD348300 00089506
	s_mov_b64 exec, s[36:37]                                   // 00000000CF48: BEFE0124
	v_mov_b32_e32 v6, v48                                      // 00000000CF4C: 7E0C0330
	s_mov_b64 s[60:61], 0                                      // 00000000CF50: BEBC0180
	v_readlane_b32 s82, v3, 8                                  // 00000000CF54: D2890052 00011103
	s_and_b32 s82, s82, 0xffffff                               // 00000000CF5C: 8652FF52 00FFFFFF
	s_cmp_lt_u32 s82, s66                                      // 00000000CF64: BF0A4252
	s_cselect_b32 s20, s36, s60                                // 00000000CF68: 85143C24
	v_readlane_b32 s82, v3, 9                                  // 00000000CF6C: D2890052 00011303
	s_and_b32 s82, s82, 0xffffff                               // 00000000CF74: 8652FF52 00FFFFFF
	s_cmp_lt_u32 s82, s66                                      // 00000000CF7C: BF0A4252
	s_cselect_b32 s21, s36, s60                                // 00000000CF80: 85153C24
	s_mov_b64 exec, s[20:21]                                   // 00000000CF84: BEFE0114
	global_atomic_add_f32 v6, v152, s[8:9]                     // 00000000CF88: DD348000 00089806
	global_atomic_add_f32 v6, v156, s[8:9] offset:256          // 00000000CF90: DD348100 00089C06
	global_atomic_add_f32 v6, v160, s[8:9] offset:512          // 00000000CF98: DD348200 0008A006
	global_atomic_add_f32 v6, v164, s[8:9] offset:768          // 00000000CFA0: DD348300 0008A406
	s_mov_b64 exec, s[36:37]                                   // 00000000CFA8: BEFE0124
	v_mov_b32_e32 v6, v49                                      // 00000000CFAC: 7E0C0331
	s_mov_b64 s[60:61], 0                                      // 00000000CFB0: BEBC0180
	v_readlane_b32 s82, v3, 10                                 // 00000000CFB4: D2890052 00011503
	s_and_b32 s82, s82, 0xffffff                               // 00000000CFBC: 8652FF52 00FFFFFF
	s_cmp_lt_u32 s82, s66                                      // 00000000CFC4: BF0A4252
	s_cselect_b32 s20, s36, s60                                // 00000000CFC8: 85143C24
	v_readlane_b32 s82, v3, 11                                 // 00000000CFCC: D2890052 00011703
	s_and_b32 s82, s82, 0xffffff                               // 00000000CFD4: 8652FF52 00FFFFFF
	s_cmp_lt_u32 s82, s66                                      // 00000000CFDC: BF0A4252
	s_cselect_b32 s21, s36, s60                                // 00000000CFE0: 85153C24
	s_mov_b64 exec, s[20:21]                                   // 00000000CFE4: BEFE0114
	global_atomic_add_f32 v6, v153, s[8:9]                     // 00000000CFE8: DD348000 00089906
	global_atomic_add_f32 v6, v157, s[8:9] offset:256          // 00000000CFF0: DD348100 00089D06
	global_atomic_add_f32 v6, v161, s[8:9] offset:512          // 00000000CFF8: DD348200 0008A106
	global_atomic_add_f32 v6, v165, s[8:9] offset:768          // 00000000D000: DD348300 0008A506
	s_mov_b64 exec, s[36:37]                                   // 00000000D008: BEFE0124
	v_mov_b32_e32 v6, v50                                      // 00000000D00C: 7E0C0332
	s_mov_b64 s[60:61], 0                                      // 00000000D010: BEBC0180
	v_readlane_b32 s82, v3, 12                                 // 00000000D014: D2890052 00011903
	s_and_b32 s82, s82, 0xffffff                               // 00000000D01C: 8652FF52 00FFFFFF
	s_cmp_lt_u32 s82, s66                                      // 00000000D024: BF0A4252
	s_cselect_b32 s20, s36, s60                                // 00000000D028: 85143C24
	v_readlane_b32 s82, v3, 13                                 // 00000000D02C: D2890052 00011B03
	s_and_b32 s82, s82, 0xffffff                               // 00000000D034: 8652FF52 00FFFFFF
	s_cmp_lt_u32 s82, s66                                      // 00000000D03C: BF0A4252
	s_cselect_b32 s21, s36, s60                                // 00000000D040: 85153C24
	s_mov_b64 exec, s[20:21]                                   // 00000000D044: BEFE0114
	global_atomic_add_f32 v6, v168, s[8:9]                     // 00000000D048: DD348000 0008A806
	global_atomic_add_f32 v6, v172, s[8:9] offset:256          // 00000000D050: DD348100 0008AC06
	global_atomic_add_f32 v6, v176, s[8:9] offset:512          // 00000000D058: DD348200 0008B006
	global_atomic_add_f32 v6, v180, s[8:9] offset:768          // 00000000D060: DD348300 0008B406
	s_mov_b64 exec, s[36:37]                                   // 00000000D068: BEFE0124
	v_mov_b32_e32 v6, v51                                      // 00000000D06C: 7E0C0333
	s_mov_b64 s[60:61], 0                                      // 00000000D070: BEBC0180
	v_readlane_b32 s82, v3, 14                                 // 00000000D074: D2890052 00011D03
	s_and_b32 s82, s82, 0xffffff                               // 00000000D07C: 8652FF52 00FFFFFF
	s_cmp_lt_u32 s82, s66                                      // 00000000D084: BF0A4252
	s_cselect_b32 s20, s36, s60                                // 00000000D088: 85143C24
	v_readlane_b32 s82, v3, 15                                 // 00000000D08C: D2890052 00011F03
	s_and_b32 s82, s82, 0xffffff                               // 00000000D094: 8652FF52 00FFFFFF
	s_cmp_lt_u32 s82, s66                                      // 00000000D09C: BF0A4252
	s_cselect_b32 s21, s36, s60                                // 00000000D0A0: 85153C24
	s_mov_b64 exec, s[20:21]                                   // 00000000D0A4: BEFE0114
	global_atomic_add_f32 v6, v169, s[8:9]                     // 00000000D0A8: DD348000 0008A906
	global_atomic_add_f32 v6, v173, s[8:9] offset:256          // 00000000D0B0: DD348100 0008AD06
	global_atomic_add_f32 v6, v177, s[8:9] offset:512          // 00000000D0B8: DD348200 0008B106
	global_atomic_add_f32 v6, v181, s[8:9] offset:768          // 00000000D0C0: DD348300 0008B506
	s_mov_b64 exec, s[36:37]                                   // 00000000D0C8: BEFE0124
	ds_write_b64 v20, v[122:123]                               // 00000000D0CC: D89A0000 00007A14
	ds_write_b64 v20, v[126:127] offset:8704                   // 00000000D0D4: D89A2200 00007E14
	ds_write_b64 v20, v[130:131] offset:17408                  // 00000000D0DC: D89A4400 00008214
	ds_write_b64 v20, v[134:135] offset:26112                  // 00000000D0E4: D89A6600 00008614
	ds_write_b64 v20, v[138:139] offset:2176                   // 00000000D0EC: D89A0880 00008A14
	ds_write_b64 v20, v[142:143] offset:10880                  // 00000000D0F4: D89A2A80 00008E14
	ds_write_b64 v20, v[146:147] offset:19584                  // 00000000D0FC: D89A4C80 00009214
	ds_write_b64 v20, v[150:151] offset:28288                  // 00000000D104: D89A6E80 00009614
	ds_write_b64 v20, v[154:155] offset:4352                   // 00000000D10C: D89A1100 00009A14
	ds_write_b64 v20, v[158:159] offset:13056                  // 00000000D114: D89A3300 00009E14
	ds_write_b64 v20, v[162:163] offset:21760                  // 00000000D11C: D89A5500 0000A214
	ds_write_b64 v20, v[166:167] offset:30464                  // 00000000D124: D89A7700 0000A614
	ds_write_b64 v20, v[170:171] offset:6528                   // 00000000D12C: D89A1980 0000AA14
	ds_write_b64 v20, v[174:175] offset:15232                  // 00000000D134: D89A3B80 0000AE14
	ds_write_b64 v20, v[178:179] offset:23936                  // 00000000D13C: D89A5D80 0000B214
	ds_write_b64 v20, v[182:183] offset:32640                  // 00000000D144: D89A7F80 0000B614
	s_waitcnt lgkmcnt(0)                                       // 00000000D14C: BF8CC07F
	s_barrier                                                  // 00000000D150: BF8A0000
	ds_read_b32 v122, v21                                      // 00000000D154: D86C0000 7A000015
	ds_read_b32 v123, v21 offset:64                            // 00000000D15C: D86C0040 7B000015
	ds_read_b32 v126, v21 offset:2176                          // 00000000D164: D86C0880 7E000015
	ds_read_b32 v127, v21 offset:2240                          // 00000000D16C: D86C08C0 7F000015
	ds_read_b32 v130, v21 offset:4352                          // 00000000D174: D86C1100 82000015
	ds_read_b32 v131, v21 offset:4416                          // 00000000D17C: D86C1140 83000015
	ds_read_b32 v134, v21 offset:6528                          // 00000000D184: D86C1980 86000015
	ds_read_b32 v135, v21 offset:6592                          // 00000000D18C: D86C19C0 87000015
	ds_read_b32 v138, v21 offset:8704                          // 00000000D194: D86C2200 8A000015
	ds_read_b32 v139, v21 offset:8768                          // 00000000D19C: D86C2240 8B000015
	ds_read_b32 v142, v21 offset:10880                         // 00000000D1A4: D86C2A80 8E000015
	ds_read_b32 v143, v21 offset:10944                         // 00000000D1AC: D86C2AC0 8F000015
	ds_read_b32 v146, v21 offset:13056                         // 00000000D1B4: D86C3300 92000015
	ds_read_b32 v147, v21 offset:13120                         // 00000000D1BC: D86C3340 93000015
	ds_read_b32 v150, v21 offset:15232                         // 00000000D1C4: D86C3B80 96000015
	ds_read_b32 v151, v21 offset:15296                         // 00000000D1CC: D86C3BC0 97000015
	ds_read_b32 v154, v21 offset:17408                         // 00000000D1D4: D86C4400 9A000015
	ds_read_b32 v155, v21 offset:17472                         // 00000000D1DC: D86C4440 9B000015
	ds_read_b32 v158, v21 offset:19584                         // 00000000D1E4: D86C4C80 9E000015
	ds_read_b32 v159, v21 offset:19648                         // 00000000D1EC: D86C4CC0 9F000015
	ds_read_b32 v162, v21 offset:21760                         // 00000000D1F4: D86C5500 A2000015
	ds_read_b32 v163, v21 offset:21824                         // 00000000D1FC: D86C5540 A3000015
	ds_read_b32 v166, v21 offset:23936                         // 00000000D204: D86C5D80 A6000015
	ds_read_b32 v167, v21 offset:24000                         // 00000000D20C: D86C5DC0 A7000015
	ds_read_b32 v170, v21 offset:26112                         // 00000000D214: D86C6600 AA000015
	ds_read_b32 v171, v21 offset:26176                         // 00000000D21C: D86C6640 AB000015
	ds_read_b32 v174, v21 offset:28288                         // 00000000D224: D86C6E80 AE000015
	ds_read_b32 v175, v21 offset:28352                         // 00000000D22C: D86C6EC0 AF000015
	ds_read_b32 v178, v21 offset:30464                         // 00000000D234: D86C7700 B2000015
	ds_read_b32 v179, v21 offset:30528                         // 00000000D23C: D86C7740 B3000015
	ds_read_b32 v182, v21 offset:32640                         // 00000000D244: D86C7F80 B6000015
	ds_read_b32 v183, v21 offset:32704                         // 00000000D24C: D86C7FC0 B7000015
	s_waitcnt lgkmcnt(0)                                       // 00000000D254: BF8CC07F
	v_mov_b32_e32 v7, 0                                        // 00000000D258: 7E0E0280
	s_mov_b64 exec, s[36:37]                                   // 00000000D25C: BEFE0124
	v_mov_b32_e32 v6, v44                                      // 00000000D260: 7E0C032C
	s_mov_b64 s[60:61], 0                                      // 00000000D264: BEBC0180
	v_readlane_b32 s82, v3, 0                                  // 00000000D268: D2890052 00010103
	s_and_b32 s82, s82, 0xffffff                               // 00000000D270: 8652FF52 00FFFFFF
	s_cmp_lt_u32 s82, s66                                      // 00000000D278: BF0A4252
	s_cselect_b32 s20, s36, s60                                // 00000000D27C: 85143C24
	v_readlane_b32 s82, v3, 1                                  // 00000000D280: D2890052 00010303
	s_and_b32 s82, s82, 0xffffff                               // 00000000D288: 8652FF52 00FFFFFF
	s_cmp_lt_u32 s82, s66                                      // 00000000D290: BF0A4252
	s_cselect_b32 s21, s36, s60                                // 00000000D294: 85153C24
	s_mov_b64 exec, s[20:21]                                   // 00000000D298: BEFE0114
	global_atomic_add_f32 v6, v122, s[8:9] offset:8            // 00000000D29C: DD348008 00087A06
	global_atomic_add_f32 v6, v126, s[8:9] offset:264          // 00000000D2A4: DD348108 00087E06
	global_atomic_add_f32 v6, v130, s[8:9] offset:520          // 00000000D2AC: DD348208 00088206
	global_atomic_add_f32 v6, v134, s[8:9] offset:776          // 00000000D2B4: DD348308 00088606
	s_mov_b64 exec, s[36:37]                                   // 00000000D2BC: BEFE0124
	v_mov_b32_e32 v6, v45                                      // 00000000D2C0: 7E0C032D
	s_mov_b64 s[60:61], 0                                      // 00000000D2C4: BEBC0180
	v_readlane_b32 s82, v3, 2                                  // 00000000D2C8: D2890052 00010503
	s_and_b32 s82, s82, 0xffffff                               // 00000000D2D0: 8652FF52 00FFFFFF
	s_cmp_lt_u32 s82, s66                                      // 00000000D2D8: BF0A4252
	s_cselect_b32 s20, s36, s60                                // 00000000D2DC: 85143C24
	v_readlane_b32 s82, v3, 3                                  // 00000000D2E0: D2890052 00010703
	s_and_b32 s82, s82, 0xffffff                               // 00000000D2E8: 8652FF52 00FFFFFF
	s_cmp_lt_u32 s82, s66                                      // 00000000D2F0: BF0A4252
	s_cselect_b32 s21, s36, s60                                // 00000000D2F4: 85153C24
	s_mov_b64 exec, s[20:21]                                   // 00000000D2F8: BEFE0114
	global_atomic_add_f32 v6, v123, s[8:9] offset:8            // 00000000D2FC: DD348008 00087B06
	global_atomic_add_f32 v6, v127, s[8:9] offset:264          // 00000000D304: DD348108 00087F06
	global_atomic_add_f32 v6, v131, s[8:9] offset:520          // 00000000D30C: DD348208 00088306
	global_atomic_add_f32 v6, v135, s[8:9] offset:776          // 00000000D314: DD348308 00088706
	s_mov_b64 exec, s[36:37]                                   // 00000000D31C: BEFE0124
	v_mov_b32_e32 v6, v46                                      // 00000000D320: 7E0C032E
	s_mov_b64 s[60:61], 0                                      // 00000000D324: BEBC0180
	v_readlane_b32 s82, v3, 4                                  // 00000000D328: D2890052 00010903
	s_and_b32 s82, s82, 0xffffff                               // 00000000D330: 8652FF52 00FFFFFF
	s_cmp_lt_u32 s82, s66                                      // 00000000D338: BF0A4252
	s_cselect_b32 s20, s36, s60                                // 00000000D33C: 85143C24
	v_readlane_b32 s82, v3, 5                                  // 00000000D340: D2890052 00010B03
	s_and_b32 s82, s82, 0xffffff                               // 00000000D348: 8652FF52 00FFFFFF
	s_cmp_lt_u32 s82, s66                                      // 00000000D350: BF0A4252
	s_cselect_b32 s21, s36, s60                                // 00000000D354: 85153C24
	s_mov_b64 exec, s[20:21]                                   // 00000000D358: BEFE0114
	global_atomic_add_f32 v6, v138, s[8:9] offset:8            // 00000000D35C: DD348008 00088A06
	global_atomic_add_f32 v6, v142, s[8:9] offset:264          // 00000000D364: DD348108 00088E06
	global_atomic_add_f32 v6, v146, s[8:9] offset:520          // 00000000D36C: DD348208 00089206
	global_atomic_add_f32 v6, v150, s[8:9] offset:776          // 00000000D374: DD348308 00089606
	s_mov_b64 exec, s[36:37]                                   // 00000000D37C: BEFE0124
	v_mov_b32_e32 v6, v47                                      // 00000000D380: 7E0C032F
	s_mov_b64 s[60:61], 0                                      // 00000000D384: BEBC0180
	v_readlane_b32 s82, v3, 6                                  // 00000000D388: D2890052 00010D03
	s_and_b32 s82, s82, 0xffffff                               // 00000000D390: 8652FF52 00FFFFFF
	s_cmp_lt_u32 s82, s66                                      // 00000000D398: BF0A4252
	s_cselect_b32 s20, s36, s60                                // 00000000D39C: 85143C24
	v_readlane_b32 s82, v3, 7                                  // 00000000D3A0: D2890052 00010F03
	s_and_b32 s82, s82, 0xffffff                               // 00000000D3A8: 8652FF52 00FFFFFF
	s_cmp_lt_u32 s82, s66                                      // 00000000D3B0: BF0A4252
	s_cselect_b32 s21, s36, s60                                // 00000000D3B4: 85153C24
	s_mov_b64 exec, s[20:21]                                   // 00000000D3B8: BEFE0114
	global_atomic_add_f32 v6, v139, s[8:9] offset:8            // 00000000D3BC: DD348008 00088B06
	global_atomic_add_f32 v6, v143, s[8:9] offset:264          // 00000000D3C4: DD348108 00088F06
	global_atomic_add_f32 v6, v147, s[8:9] offset:520          // 00000000D3CC: DD348208 00089306
	global_atomic_add_f32 v6, v151, s[8:9] offset:776          // 00000000D3D4: DD348308 00089706
	s_mov_b64 exec, s[36:37]                                   // 00000000D3DC: BEFE0124
	v_mov_b32_e32 v6, v48                                      // 00000000D3E0: 7E0C0330
	s_mov_b64 s[60:61], 0                                      // 00000000D3E4: BEBC0180
	v_readlane_b32 s82, v3, 8                                  // 00000000D3E8: D2890052 00011103
	s_and_b32 s82, s82, 0xffffff                               // 00000000D3F0: 8652FF52 00FFFFFF
	s_cmp_lt_u32 s82, s66                                      // 00000000D3F8: BF0A4252
	s_cselect_b32 s20, s36, s60                                // 00000000D3FC: 85143C24
	v_readlane_b32 s82, v3, 9                                  // 00000000D400: D2890052 00011303
	s_and_b32 s82, s82, 0xffffff                               // 00000000D408: 8652FF52 00FFFFFF
	s_cmp_lt_u32 s82, s66                                      // 00000000D410: BF0A4252
	s_cselect_b32 s21, s36, s60                                // 00000000D414: 85153C24
	s_mov_b64 exec, s[20:21]                                   // 00000000D418: BEFE0114
	global_atomic_add_f32 v6, v154, s[8:9] offset:8            // 00000000D41C: DD348008 00089A06
	global_atomic_add_f32 v6, v158, s[8:9] offset:264          // 00000000D424: DD348108 00089E06
	global_atomic_add_f32 v6, v162, s[8:9] offset:520          // 00000000D42C: DD348208 0008A206
	global_atomic_add_f32 v6, v166, s[8:9] offset:776          // 00000000D434: DD348308 0008A606
	s_mov_b64 exec, s[36:37]                                   // 00000000D43C: BEFE0124
	v_mov_b32_e32 v6, v49                                      // 00000000D440: 7E0C0331
	s_mov_b64 s[60:61], 0                                      // 00000000D444: BEBC0180
	v_readlane_b32 s82, v3, 10                                 // 00000000D448: D2890052 00011503
	s_and_b32 s82, s82, 0xffffff                               // 00000000D450: 8652FF52 00FFFFFF
	s_cmp_lt_u32 s82, s66                                      // 00000000D458: BF0A4252
	s_cselect_b32 s20, s36, s60                                // 00000000D45C: 85143C24
	v_readlane_b32 s82, v3, 11                                 // 00000000D460: D2890052 00011703
	s_and_b32 s82, s82, 0xffffff                               // 00000000D468: 8652FF52 00FFFFFF
	s_cmp_lt_u32 s82, s66                                      // 00000000D470: BF0A4252
	s_cselect_b32 s21, s36, s60                                // 00000000D474: 85153C24
	s_mov_b64 exec, s[20:21]                                   // 00000000D478: BEFE0114
	global_atomic_add_f32 v6, v155, s[8:9] offset:8            // 00000000D47C: DD348008 00089B06
	global_atomic_add_f32 v6, v159, s[8:9] offset:264          // 00000000D484: DD348108 00089F06
	global_atomic_add_f32 v6, v163, s[8:9] offset:520          // 00000000D48C: DD348208 0008A306
	global_atomic_add_f32 v6, v167, s[8:9] offset:776          // 00000000D494: DD348308 0008A706
	s_mov_b64 exec, s[36:37]                                   // 00000000D49C: BEFE0124
	v_mov_b32_e32 v6, v50                                      // 00000000D4A0: 7E0C0332
	s_mov_b64 s[60:61], 0                                      // 00000000D4A4: BEBC0180
	v_readlane_b32 s82, v3, 12                                 // 00000000D4A8: D2890052 00011903
	s_and_b32 s82, s82, 0xffffff                               // 00000000D4B0: 8652FF52 00FFFFFF
	s_cmp_lt_u32 s82, s66                                      // 00000000D4B8: BF0A4252
	s_cselect_b32 s20, s36, s60                                // 00000000D4BC: 85143C24
	v_readlane_b32 s82, v3, 13                                 // 00000000D4C0: D2890052 00011B03
	s_and_b32 s82, s82, 0xffffff                               // 00000000D4C8: 8652FF52 00FFFFFF
	s_cmp_lt_u32 s82, s66                                      // 00000000D4D0: BF0A4252
	s_cselect_b32 s21, s36, s60                                // 00000000D4D4: 85153C24
	s_mov_b64 exec, s[20:21]                                   // 00000000D4D8: BEFE0114
	global_atomic_add_f32 v6, v170, s[8:9] offset:8            // 00000000D4DC: DD348008 0008AA06
	global_atomic_add_f32 v6, v174, s[8:9] offset:264          // 00000000D4E4: DD348108 0008AE06
	global_atomic_add_f32 v6, v178, s[8:9] offset:520          // 00000000D4EC: DD348208 0008B206
	global_atomic_add_f32 v6, v182, s[8:9] offset:776          // 00000000D4F4: DD348308 0008B606
	s_mov_b64 exec, s[36:37]                                   // 00000000D4FC: BEFE0124
	v_mov_b32_e32 v6, v51                                      // 00000000D500: 7E0C0333
	s_mov_b64 s[60:61], 0                                      // 00000000D504: BEBC0180
	v_readlane_b32 s82, v3, 14                                 // 00000000D508: D2890052 00011D03
	s_and_b32 s82, s82, 0xffffff                               // 00000000D510: 8652FF52 00FFFFFF
	s_cmp_lt_u32 s82, s66                                      // 00000000D518: BF0A4252
	s_cselect_b32 s20, s36, s60                                // 00000000D51C: 85143C24
	v_readlane_b32 s82, v3, 15                                 // 00000000D520: D2890052 00011F03
	s_and_b32 s82, s82, 0xffffff                               // 00000000D528: 8652FF52 00FFFFFF
	s_cmp_lt_u32 s82, s66                                      // 00000000D530: BF0A4252
	s_cselect_b32 s21, s36, s60                                // 00000000D534: 85153C24
	s_mov_b64 exec, s[20:21]                                   // 00000000D538: BEFE0114
	global_atomic_add_f32 v6, v171, s[8:9] offset:8            // 00000000D53C: DD348008 0008AB06
	global_atomic_add_f32 v6, v175, s[8:9] offset:264          // 00000000D544: DD348108 0008AF06
	global_atomic_add_f32 v6, v179, s[8:9] offset:520          // 00000000D54C: DD348208 0008B306
	global_atomic_add_f32 v6, v183, s[8:9] offset:776          // 00000000D554: DD348308 0008B706
	s_mov_b64 exec, s[36:37]                                   // 00000000D55C: BEFE0124
	s_branch label_2ADC                                        // 00000000D560: BF820000

000000000000d564 <label_2ADC>:
	s_waitcnt vmcnt(0) expcnt(0) lgkmcnt(0)                    // 00000000D564: BF8C0000
	s_endpgm                                                   // 00000000D568: BF810000
